;; amdgpu-corpus repo=ROCm/rocFFT kind=compiled arch=gfx1030 opt=O3
	.text
	.amdgcn_target "amdgcn-amd-amdhsa--gfx1030"
	.amdhsa_code_object_version 6
	.protected	fft_rtc_back_len1260_factors_2_2_3_3_5_7_wgs_63_tpt_63_halfLds_half_ip_CI_unitstride_sbrr_dirReg ; -- Begin function fft_rtc_back_len1260_factors_2_2_3_3_5_7_wgs_63_tpt_63_halfLds_half_ip_CI_unitstride_sbrr_dirReg
	.globl	fft_rtc_back_len1260_factors_2_2_3_3_5_7_wgs_63_tpt_63_halfLds_half_ip_CI_unitstride_sbrr_dirReg
	.p2align	8
	.type	fft_rtc_back_len1260_factors_2_2_3_3_5_7_wgs_63_tpt_63_halfLds_half_ip_CI_unitstride_sbrr_dirReg,@function
fft_rtc_back_len1260_factors_2_2_3_3_5_7_wgs_63_tpt_63_halfLds_half_ip_CI_unitstride_sbrr_dirReg: ; @fft_rtc_back_len1260_factors_2_2_3_3_5_7_wgs_63_tpt_63_halfLds_half_ip_CI_unitstride_sbrr_dirReg
; %bb.0:
	s_clause 0x2
	s_load_dwordx4 s[8:11], s[4:5], 0x0
	s_load_dwordx2 s[2:3], s[4:5], 0x50
	s_load_dwordx2 s[12:13], s[4:5], 0x18
	v_mul_u32_u24_e32 v1, 0x411, v0
	v_mov_b32_e32 v3, 0
	v_add_nc_u32_sdwa v5, s6, v1 dst_sel:DWORD dst_unused:UNUSED_PAD src0_sel:DWORD src1_sel:WORD_1
	v_mov_b32_e32 v1, 0
	v_mov_b32_e32 v6, v3
	v_mov_b32_e32 v2, 0
	s_waitcnt lgkmcnt(0)
	v_cmp_lt_u64_e64 s0, s[10:11], 2
	s_and_b32 vcc_lo, exec_lo, s0
	s_cbranch_vccnz .LBB0_8
; %bb.1:
	s_load_dwordx2 s[0:1], s[4:5], 0x10
	v_mov_b32_e32 v1, 0
	s_add_u32 s6, s12, 8
	v_mov_b32_e32 v2, 0
	s_addc_u32 s7, s13, 0
	s_mov_b64 s[16:17], 1
	s_waitcnt lgkmcnt(0)
	s_add_u32 s14, s0, 8
	s_addc_u32 s15, s1, 0
.LBB0_2:                                ; =>This Inner Loop Header: Depth=1
	s_load_dwordx2 s[18:19], s[14:15], 0x0
                                        ; implicit-def: $vgpr7_vgpr8
	s_mov_b32 s0, exec_lo
	s_waitcnt lgkmcnt(0)
	v_or_b32_e32 v4, s19, v6
	v_cmpx_ne_u64_e32 0, v[3:4]
	s_xor_b32 s1, exec_lo, s0
	s_cbranch_execz .LBB0_4
; %bb.3:                                ;   in Loop: Header=BB0_2 Depth=1
	v_cvt_f32_u32_e32 v4, s18
	v_cvt_f32_u32_e32 v7, s19
	s_sub_u32 s0, 0, s18
	s_subb_u32 s20, 0, s19
	v_fmac_f32_e32 v4, 0x4f800000, v7
	v_rcp_f32_e32 v4, v4
	v_mul_f32_e32 v4, 0x5f7ffffc, v4
	v_mul_f32_e32 v7, 0x2f800000, v4
	v_trunc_f32_e32 v7, v7
	v_fmac_f32_e32 v4, 0xcf800000, v7
	v_cvt_u32_f32_e32 v7, v7
	v_cvt_u32_f32_e32 v4, v4
	v_mul_lo_u32 v8, s0, v7
	v_mul_hi_u32 v9, s0, v4
	v_mul_lo_u32 v10, s20, v4
	v_add_nc_u32_e32 v8, v9, v8
	v_mul_lo_u32 v9, s0, v4
	v_add_nc_u32_e32 v8, v8, v10
	v_mul_hi_u32 v10, v4, v9
	v_mul_lo_u32 v11, v4, v8
	v_mul_hi_u32 v12, v4, v8
	v_mul_hi_u32 v13, v7, v9
	v_mul_lo_u32 v9, v7, v9
	v_mul_hi_u32 v14, v7, v8
	v_mul_lo_u32 v8, v7, v8
	v_add_co_u32 v10, vcc_lo, v10, v11
	v_add_co_ci_u32_e32 v11, vcc_lo, 0, v12, vcc_lo
	v_add_co_u32 v9, vcc_lo, v10, v9
	v_add_co_ci_u32_e32 v9, vcc_lo, v11, v13, vcc_lo
	v_add_co_ci_u32_e32 v10, vcc_lo, 0, v14, vcc_lo
	v_add_co_u32 v8, vcc_lo, v9, v8
	v_add_co_ci_u32_e32 v9, vcc_lo, 0, v10, vcc_lo
	v_add_co_u32 v4, vcc_lo, v4, v8
	v_add_co_ci_u32_e32 v7, vcc_lo, v7, v9, vcc_lo
	v_mul_hi_u32 v8, s0, v4
	v_mul_lo_u32 v10, s20, v4
	v_mul_lo_u32 v9, s0, v7
	v_add_nc_u32_e32 v8, v8, v9
	v_mul_lo_u32 v9, s0, v4
	v_add_nc_u32_e32 v8, v8, v10
	v_mul_hi_u32 v10, v4, v9
	v_mul_lo_u32 v11, v4, v8
	v_mul_hi_u32 v12, v4, v8
	v_mul_hi_u32 v13, v7, v9
	v_mul_lo_u32 v9, v7, v9
	v_mul_hi_u32 v14, v7, v8
	v_mul_lo_u32 v8, v7, v8
	v_add_co_u32 v10, vcc_lo, v10, v11
	v_add_co_ci_u32_e32 v11, vcc_lo, 0, v12, vcc_lo
	v_add_co_u32 v9, vcc_lo, v10, v9
	v_add_co_ci_u32_e32 v9, vcc_lo, v11, v13, vcc_lo
	v_add_co_ci_u32_e32 v10, vcc_lo, 0, v14, vcc_lo
	v_add_co_u32 v8, vcc_lo, v9, v8
	v_add_co_ci_u32_e32 v9, vcc_lo, 0, v10, vcc_lo
	v_add_co_u32 v4, vcc_lo, v4, v8
	v_add_co_ci_u32_e32 v11, vcc_lo, v7, v9, vcc_lo
	v_mul_hi_u32 v13, v5, v4
	v_mad_u64_u32 v[9:10], null, v6, v4, 0
	v_mad_u64_u32 v[7:8], null, v5, v11, 0
	;; [unrolled: 1-line block ×3, first 2 shown]
	v_add_co_u32 v4, vcc_lo, v13, v7
	v_add_co_ci_u32_e32 v7, vcc_lo, 0, v8, vcc_lo
	v_add_co_u32 v4, vcc_lo, v4, v9
	v_add_co_ci_u32_e32 v4, vcc_lo, v7, v10, vcc_lo
	v_add_co_ci_u32_e32 v7, vcc_lo, 0, v12, vcc_lo
	v_add_co_u32 v4, vcc_lo, v4, v11
	v_add_co_ci_u32_e32 v9, vcc_lo, 0, v7, vcc_lo
	v_mul_lo_u32 v10, s19, v4
	v_mad_u64_u32 v[7:8], null, s18, v4, 0
	v_mul_lo_u32 v11, s18, v9
	v_sub_co_u32 v7, vcc_lo, v5, v7
	v_add3_u32 v8, v8, v11, v10
	v_sub_nc_u32_e32 v10, v6, v8
	v_subrev_co_ci_u32_e64 v10, s0, s19, v10, vcc_lo
	v_add_co_u32 v11, s0, v4, 2
	v_add_co_ci_u32_e64 v12, s0, 0, v9, s0
	v_sub_co_u32 v13, s0, v7, s18
	v_sub_co_ci_u32_e32 v8, vcc_lo, v6, v8, vcc_lo
	v_subrev_co_ci_u32_e64 v10, s0, 0, v10, s0
	v_cmp_le_u32_e32 vcc_lo, s18, v13
	v_cmp_eq_u32_e64 s0, s19, v8
	v_cndmask_b32_e64 v13, 0, -1, vcc_lo
	v_cmp_le_u32_e32 vcc_lo, s19, v10
	v_cndmask_b32_e64 v14, 0, -1, vcc_lo
	v_cmp_le_u32_e32 vcc_lo, s18, v7
	;; [unrolled: 2-line block ×3, first 2 shown]
	v_cndmask_b32_e64 v15, 0, -1, vcc_lo
	v_cmp_eq_u32_e32 vcc_lo, s19, v10
	v_cndmask_b32_e64 v7, v15, v7, s0
	v_cndmask_b32_e32 v10, v14, v13, vcc_lo
	v_add_co_u32 v13, vcc_lo, v4, 1
	v_add_co_ci_u32_e32 v14, vcc_lo, 0, v9, vcc_lo
	v_cmp_ne_u32_e32 vcc_lo, 0, v10
	v_cndmask_b32_e32 v8, v14, v12, vcc_lo
	v_cndmask_b32_e32 v10, v13, v11, vcc_lo
	v_cmp_ne_u32_e32 vcc_lo, 0, v7
	v_cndmask_b32_e32 v8, v9, v8, vcc_lo
	v_cndmask_b32_e32 v7, v4, v10, vcc_lo
.LBB0_4:                                ;   in Loop: Header=BB0_2 Depth=1
	s_andn2_saveexec_b32 s0, s1
	s_cbranch_execz .LBB0_6
; %bb.5:                                ;   in Loop: Header=BB0_2 Depth=1
	v_cvt_f32_u32_e32 v4, s18
	s_sub_i32 s1, 0, s18
	v_rcp_iflag_f32_e32 v4, v4
	v_mul_f32_e32 v4, 0x4f7ffffe, v4
	v_cvt_u32_f32_e32 v4, v4
	v_mul_lo_u32 v7, s1, v4
	v_mul_hi_u32 v7, v4, v7
	v_add_nc_u32_e32 v4, v4, v7
	v_mul_hi_u32 v4, v5, v4
	v_mul_lo_u32 v7, v4, s18
	v_add_nc_u32_e32 v8, 1, v4
	v_sub_nc_u32_e32 v7, v5, v7
	v_subrev_nc_u32_e32 v9, s18, v7
	v_cmp_le_u32_e32 vcc_lo, s18, v7
	v_cndmask_b32_e32 v7, v7, v9, vcc_lo
	v_cndmask_b32_e32 v4, v4, v8, vcc_lo
	v_cmp_le_u32_e32 vcc_lo, s18, v7
	v_add_nc_u32_e32 v8, 1, v4
	v_cndmask_b32_e32 v7, v4, v8, vcc_lo
	v_mov_b32_e32 v8, v3
.LBB0_6:                                ;   in Loop: Header=BB0_2 Depth=1
	s_or_b32 exec_lo, exec_lo, s0
	s_load_dwordx2 s[0:1], s[6:7], 0x0
	v_mul_lo_u32 v4, v8, s18
	v_mul_lo_u32 v11, v7, s19
	v_mad_u64_u32 v[9:10], null, v7, s18, 0
	s_add_u32 s16, s16, 1
	s_addc_u32 s17, s17, 0
	s_add_u32 s6, s6, 8
	s_addc_u32 s7, s7, 0
	;; [unrolled: 2-line block ×3, first 2 shown]
	v_add3_u32 v4, v10, v11, v4
	v_sub_co_u32 v5, vcc_lo, v5, v9
	v_sub_co_ci_u32_e32 v4, vcc_lo, v6, v4, vcc_lo
	s_waitcnt lgkmcnt(0)
	v_mul_lo_u32 v6, s1, v5
	v_mul_lo_u32 v4, s0, v4
	v_mad_u64_u32 v[1:2], null, s0, v5, v[1:2]
	v_cmp_ge_u64_e64 s0, s[16:17], s[10:11]
	s_and_b32 vcc_lo, exec_lo, s0
	v_add3_u32 v2, v6, v2, v4
	s_cbranch_vccnz .LBB0_9
; %bb.7:                                ;   in Loop: Header=BB0_2 Depth=1
	v_mov_b32_e32 v5, v7
	v_mov_b32_e32 v6, v8
	s_branch .LBB0_2
.LBB0_8:
	v_mov_b32_e32 v8, v6
	v_mov_b32_e32 v7, v5
.LBB0_9:
	s_lshl_b64 s[0:1], s[10:11], 3
	v_mul_hi_u32 v4, 0x4104105, v0
	s_add_u32 s0, s12, s0
	s_addc_u32 s1, s13, s1
	v_mov_b32_e32 v17, 0
	s_load_dwordx2 s[0:1], s[0:1], 0x0
	s_load_dwordx2 s[4:5], s[4:5], 0x20
	v_mov_b32_e32 v18, 0
	v_mov_b32_e32 v19, 0
	;; [unrolled: 1-line block ×3, first 2 shown]
	v_mul_u32_u24_e32 v4, 63, v4
	v_mov_b32_e32 v10, 0
	v_mov_b32_e32 v13, 0
	;; [unrolled: 1-line block ×4, first 2 shown]
	v_sub_nc_u32_e32 v0, v0, v4
	v_mov_b32_e32 v28, 0
                                        ; implicit-def: $vgpr22
                                        ; implicit-def: $vgpr16
                                        ; implicit-def: $vgpr30
                                        ; implicit-def: $vgpr15
                                        ; implicit-def: $vgpr32
                                        ; implicit-def: $vgpr12
                                        ; implicit-def: $vgpr34
                                        ; implicit-def: $vgpr11
                                        ; implicit-def: $vgpr36
                                        ; implicit-def: $vgpr9
                                        ; implicit-def: $vgpr29
                                        ; implicit-def: $vgpr31
                                        ; implicit-def: $vgpr33
                                        ; implicit-def: $vgpr35
                                        ; implicit-def: $vgpr37
                                        ; implicit-def: $vgpr4
	s_waitcnt lgkmcnt(0)
	v_mul_lo_u32 v5, s0, v8
	v_mul_lo_u32 v6, s1, v7
	v_mad_u64_u32 v[2:3], null, s0, v7, v[1:2]
	v_cmp_gt_u64_e32 vcc_lo, s[4:5], v[7:8]
	v_mov_b32_e32 v1, 0
                                        ; implicit-def: $vgpr8
                                        ; implicit-def: $vgpr7
	v_add3_u32 v3, v6, v3, v5
                                        ; implicit-def: $vgpr5
                                        ; implicit-def: $vgpr6
	v_lshlrev_b64 v[2:3], 2, v[2:3]
	s_and_saveexec_b32 s1, vcc_lo
	s_cbranch_execz .LBB0_11
; %bb.10:
	v_mov_b32_e32 v1, 0
	v_lshlrev_b64 v[4:5], 2, v[0:1]
	v_add_co_u32 v1, s0, s2, v2
	v_add_co_ci_u32_e64 v6, s0, s3, v3, s0
	v_add_co_u32 v22, s0, v1, v4
	v_add_co_ci_u32_e64 v23, s0, v6, v5, s0
	;; [unrolled: 2-line block ×4, first 2 shown]
	s_clause 0x13
	global_load_dword v16, v[24:25], off offset:472
	global_load_dword v15, v[24:25], off offset:724
	global_load_dword v12, v[24:25], off offset:976
	global_load_dword v11, v[24:25], off offset:1228
	global_load_dword v9, v[24:25], off offset:1480
	global_load_dword v8, v[24:25], off offset:1732
	global_load_dword v5, v[24:25], off offset:1984
	global_load_dword v6, v[13:14], off offset:188
	global_load_dword v7, v[13:14], off offset:440
	global_load_dword v4, v[13:14], off offset:692
	global_load_dword v1, v[22:23], off
	global_load_dword v17, v[22:23], off offset:252
	global_load_dword v18, v[22:23], off offset:504
	global_load_dword v19, v[22:23], off offset:756
	global_load_dword v21, v[22:23], off offset:1008
	global_load_dword v10, v[22:23], off offset:1260
	global_load_dword v13, v[22:23], off offset:1512
	global_load_dword v14, v[22:23], off offset:1764
	global_load_dword v20, v[22:23], off offset:2016
	global_load_dword v28, v[24:25], off offset:220
	s_waitcnt vmcnt(19)
	v_lshrrev_b32_e32 v22, 16, v16
	s_waitcnt vmcnt(18)
	v_lshrrev_b32_e32 v30, 16, v15
	;; [unrolled: 2-line block ×10, first 2 shown]
.LBB0_11:
	s_or_b32 exec_lo, exec_lo, s1
	s_waitcnt vmcnt(9)
	v_sub_f16_e32 v16, v1, v16
	s_waitcnt vmcnt(8)
	v_sub_f16_e32 v15, v17, v15
	v_lshrrev_b32_e32 v23, 16, v1
	s_waitcnt vmcnt(7)
	v_sub_f16_e32 v12, v18, v12
	s_waitcnt vmcnt(6)
	v_sub_f16_e32 v11, v19, v11
	v_fma_f16 v24, v1, 2.0, -v16
	v_fma_f16 v25, v17, 2.0, -v15
	v_add_nc_u32_e32 v1, 63, v0
	s_waitcnt vmcnt(3)
	v_sub_f16_e32 v39, v13, v5
	v_lshl_add_u32 v47, v0, 2, 0
	v_pack_b32_f16 v5, v24, v16
	v_sub_f16_e32 v9, v21, v9
	s_waitcnt vmcnt(2)
	v_sub_f16_e32 v40, v14, v6
	v_lshl_add_u32 v48, v1, 2, 0
	v_pack_b32_f16 v6, v25, v15
	v_sub_f16_e32 v38, v10, v8
	v_fma_f16 v26, v18, 2.0, -v12
	v_fma_f16 v27, v19, 2.0, -v11
	v_add_nc_u32_e32 v8, 0x7e, v0
	ds_write_b32 v47, v5
	ds_write_b32 v48, v6
	v_add_nc_u32_e32 v5, 0xbd, v0
	v_lshrrev_b32_e32 v17, 16, v17
	v_fma_f16 v41, v21, 2.0, -v9
	s_waitcnt vmcnt(1)
	v_sub_f16_e32 v42, v20, v7
	v_add_nc_u32_e32 v7, 0xfc, v0
	v_lshrrev_b32_e32 v18, 16, v18
	v_fma_f16 v43, v10, 2.0, -v38
	v_add_nc_u32_e32 v6, 0x13b, v0
	v_lshrrev_b32_e32 v19, 16, v19
	s_waitcnt vmcnt(0)
	v_sub_f16_e32 v4, v28, v4
	v_lshrrev_b32_e32 v21, 16, v21
	v_lshrrev_b32_e32 v10, 16, v10
	v_sub_f16_e32 v22, v23, v22
	v_fma_f16 v44, v13, 2.0, -v39
	v_lshl_add_u32 v50, v8, 2, 0
	v_pack_b32_f16 v12, v26, v12
	v_lshl_add_u32 v51, v5, 2, 0
	v_pack_b32_f16 v11, v27, v11
	v_sub_f16_e32 v30, v17, v30
	v_lshrrev_b32_e32 v13, 16, v13
	v_fma_f16 v45, v14, 2.0, -v40
	v_lshl_add_u32 v52, v7, 2, 0
	v_pack_b32_f16 v16, v41, v9
	v_sub_f16_e32 v32, v18, v32
	v_lshrrev_b32_e32 v14, 16, v14
	v_fma_f16 v46, v20, 2.0, -v42
	;; [unrolled: 5-line block ×3, first 2 shown]
	v_sub_f16_e32 v36, v21, v36
	v_lshrrev_b32_e32 v28, 16, v28
	v_sub_f16_e32 v29, v10, v29
	v_fma_f16 v23, v23, 2.0, -v22
	v_lshlrev_b32_e32 v49, 1, v0
	ds_write_b32 v50, v12
	v_add_nc_u32_e32 v9, 0x17a, v0
	ds_write_b32 v51, v11
	ds_write_b32 v52, v16
	;; [unrolled: 1-line block ×3, first 2 shown]
	v_pack_b32_f16 v11, v44, v39
	v_add_nc_u32_e32 v39, 0x237, v0
	v_fma_f16 v17, v17, 2.0, -v30
	v_sub_f16_e32 v31, v13, v31
	v_add_nc_u32_e32 v38, 0x1b9, v0
	v_fma_f16 v18, v18, 2.0, -v32
	v_sub_f16_e32 v33, v14, v33
	;; [unrolled: 3-line block ×3, first 2 shown]
	v_fma_f16 v21, v21, 2.0, -v36
	v_sub_f16_e32 v37, v28, v37
	v_fma_f16 v10, v10, 2.0, -v29
	v_lshl_add_u32 v43, v9, 2, 0
	v_pack_b32_f16 v12, v45, v40
	v_pack_b32_f16 v16, v46, v42
	v_lshl_add_u32 v42, v39, 2, 0
	v_pack_b32_f16 v15, v15, v4
	v_add_nc_u32_e32 v4, 0, v49
	v_pack_b32_f16 v45, v23, v22
	v_fma_f16 v13, v13, 2.0, -v31
	v_pack_b32_f16 v17, v17, v30
	v_lshl_add_u32 v44, v38, 2, 0
	v_fma_f16 v14, v14, 2.0, -v33
	v_pack_b32_f16 v18, v18, v32
	v_lshl_add_u32 v40, v53, 2, 0
	v_fma_f16 v20, v20, 2.0, -v35
	v_pack_b32_f16 v19, v19, v34
	v_fma_f16 v28, v28, 2.0, -v37
	v_pack_b32_f16 v21, v21, v36
	v_pack_b32_f16 v10, v10, v29
	ds_write_b32 v43, v11
	ds_write_b32 v44, v12
	;; [unrolled: 1-line block ×4, first 2 shown]
	s_waitcnt lgkmcnt(0)
	s_barrier
	buffer_gl0_inv
	ds_read_u16 v12, v4 offset:1512
	ds_read_u16 v15, v4 offset:1638
	;; [unrolled: 1-line block ×4, first 2 shown]
	ds_read_u16 v77, v4
	ds_read_u16 v78, v4 offset:126
	ds_read_u16 v79, v4 offset:252
	ds_read_u16 v80, v4 offset:378
	ds_read_u16 v81, v4 offset:504
	ds_read_u16 v82, v4 offset:630
	ds_read_u16 v83, v4 offset:756
	ds_read_u16 v84, v4 offset:882
	ds_read_u16 v85, v4 offset:1008
	ds_read_u16 v26, v4 offset:1386
	ds_read_u16 v27, v4 offset:1260
	ds_read_u16 v86, v4 offset:1134
	ds_read_u16 v25, v4 offset:2016
	ds_read_u16 v24, v4 offset:2142
	ds_read_u16 v23, v4 offset:2268
	ds_read_u16 v22, v4 offset:2394
	s_waitcnt lgkmcnt(0)
	s_barrier
	buffer_gl0_inv
	ds_write_b32 v47, v45
	ds_write_b32 v48, v17
	;; [unrolled: 1-line block ×6, first 2 shown]
	v_pack_b32_f16 v10, v13, v31
	v_pack_b32_f16 v13, v14, v33
	;; [unrolled: 1-line block ×4, first 2 shown]
	v_and_b32_e32 v17, 1, v0
	ds_write_b32 v43, v10
	ds_write_b32 v44, v13
	;; [unrolled: 1-line block ×3, first 2 shown]
	v_and_b32_e32 v13, 1, v1
	v_and_b32_e32 v14, 1, v5
	ds_write_b32 v42, v18
	v_and_b32_e32 v18, 1, v6
	v_lshlrev_b32_e32 v10, 2, v17
	v_and_b32_e32 v21, 1, v38
	v_lshlrev_b32_e32 v19, 2, v13
	;; [unrolled: 2-line block ×3, first 2 shown]
	v_lshlrev_b32_e32 v28, 2, v18
	s_waitcnt lgkmcnt(0)
	s_barrier
	buffer_gl0_inv
	s_clause 0x1
	global_load_dword v41, v10, s[8:9]
	global_load_dword v45, v19, s[8:9]
	v_lshlrev_b32_e32 v10, 2, v21
	v_lshlrev_b32_e32 v19, 2, v29
	s_clause 0x3
	global_load_dword v46, v20, s[8:9]
	global_load_dword v44, v28, s[8:9]
	;; [unrolled: 1-line block ×4, first 2 shown]
	v_lshlrev_b32_e32 v10, 1, v1
	v_lshlrev_b32_e32 v19, 1, v8
	;; [unrolled: 1-line block ×3, first 2 shown]
	ds_read_u16 v72, v4 offset:1260
	ds_read_u16 v73, v4 offset:1386
	;; [unrolled: 1-line block ×12, first 2 shown]
	ds_read_u16 v62, v4
	ds_read_u16 v63, v4 offset:126
	ds_read_u16 v64, v4 offset:252
	;; [unrolled: 1-line block ×7, first 2 shown]
	v_lshlrev_b32_e32 v28, 1, v7
	v_lshlrev_b32_e32 v30, 1, v6
	;; [unrolled: 1-line block ×6, first 2 shown]
	v_and_or_b32 v10, 0xfc, v10, v13
	v_and_or_b32 v13, 0x1fc, v19, v17
	;; [unrolled: 1-line block ×10, first 2 shown]
	v_lshl_add_u32 v48, v10, 1, 0
	v_lshl_add_u32 v49, v13, 1, 0
	;; [unrolled: 1-line block ×10, first 2 shown]
	s_waitcnt vmcnt(0) lgkmcnt(0)
	s_barrier
	buffer_gl0_inv
	v_cmp_gt_u32_e64 s0, 42, v0
	v_mul_f16_sdwa v10, v72, v41 dst_sel:DWORD dst_unused:UNUSED_PAD src0_sel:DWORD src1_sel:WORD_1
	v_mul_f16_sdwa v13, v73, v45 dst_sel:DWORD dst_unused:UNUSED_PAD src0_sel:DWORD src1_sel:WORD_1
	;; [unrolled: 1-line block ×10, first 2 shown]
	v_fmac_f16_e32 v10, v27, v41
	v_fmac_f16_e32 v13, v26, v45
	;; [unrolled: 1-line block ×10, first 2 shown]
	v_sub_f16_e32 v10, v77, v10
	v_sub_f16_e32 v30, v78, v13
	;; [unrolled: 1-line block ×10, first 2 shown]
	v_fma_f16 v29, v77, 2.0, -v10
	v_fma_f16 v31, v78, 2.0, -v30
	;; [unrolled: 1-line block ×8, first 2 shown]
	ds_write_b16 v47, v10 offset:4
	v_fma_f16 v35, v82, 2.0, -v19
	v_fma_f16 v10, v86, 2.0, -v13
	ds_write_b16 v47, v29
	ds_write_b16 v48, v31
	ds_write_b16 v48, v30 offset:4
	ds_write_b16 v49, v32
	ds_write_b16 v49, v14 offset:4
	;; [unrolled: 2-line block ×9, first 2 shown]
	s_waitcnt lgkmcnt(0)
	s_barrier
	buffer_gl0_inv
	ds_read_u16 v30, v4 offset:1932
	ds_read_u16 v28, v4 offset:2058
	ds_read_u16 v21, v4
	ds_read_u16 v20, v4 offset:126
	ds_read_u16 v19, v4 offset:252
	;; [unrolled: 1-line block ×15, first 2 shown]
                                        ; implicit-def: $vgpr35
	s_and_saveexec_b32 s1, s0
	s_cbranch_execz .LBB0_13
; %bb.12:
	ds_read_u16 v10, v4 offset:756
	ds_read_u16 v13, v4 offset:1596
	;; [unrolled: 1-line block ×3, first 2 shown]
.LBB0_13:
	s_or_b32 exec_lo, exec_lo, s1
	v_mul_f16_sdwa v27, v27, v41 dst_sel:DWORD dst_unused:UNUSED_PAD src0_sel:DWORD src1_sel:WORD_1
	v_mul_f16_sdwa v26, v26, v45 dst_sel:DWORD dst_unused:UNUSED_PAD src0_sel:DWORD src1_sel:WORD_1
	;; [unrolled: 1-line block ×7, first 2 shown]
	v_fma_f16 v27, v72, v41, -v27
	v_mul_f16_sdwa v25, v25, v41 dst_sel:DWORD dst_unused:UNUSED_PAD src0_sel:DWORD src1_sel:WORD_1
	v_mul_f16_sdwa v24, v24, v43 dst_sel:DWORD dst_unused:UNUSED_PAD src0_sel:DWORD src1_sel:WORD_1
	;; [unrolled: 1-line block ×3, first 2 shown]
	v_fma_f16 v26, v73, v45, -v26
	v_fma_f16 v12, v74, v41, -v12
	;; [unrolled: 1-line block ×9, first 2 shown]
	v_sub_f16_e32 v27, v62, v27
	v_sub_f16_e32 v26, v63, v26
	;; [unrolled: 1-line block ×7, first 2 shown]
	v_fma_f16 v41, v62, 2.0, -v27
	v_sub_f16_e32 v25, v60, v25
	v_sub_f16_e32 v24, v61, v24
	;; [unrolled: 1-line block ×3, first 2 shown]
	v_fma_f16 v42, v63, 2.0, -v26
	v_fma_f16 v43, v64, 2.0, -v12
	;; [unrolled: 1-line block ×9, first 2 shown]
	s_waitcnt lgkmcnt(0)
	s_barrier
	buffer_gl0_inv
	ds_write_b16 v47, v41
	ds_write_b16 v47, v27 offset:4
	ds_write_b16 v48, v42
	ds_write_b16 v48, v26 offset:4
	;; [unrolled: 2-line block ×10, first 2 shown]
	s_waitcnt lgkmcnt(0)
	s_barrier
	buffer_gl0_inv
	ds_read_u16 v47, v4 offset:966
	ds_read_u16 v42, v4 offset:1806
	;; [unrolled: 1-line block ×4, first 2 shown]
	ds_read_u16 v26, v4
	ds_read_u16 v25, v4 offset:126
	ds_read_u16 v24, v4 offset:252
	;; [unrolled: 1-line block ×13, first 2 shown]
                                        ; implicit-def: $vgpr53
	s_and_saveexec_b32 s1, s0
	s_cbranch_execz .LBB0_15
; %bb.14:
	ds_read_u16 v11, v4 offset:756
	ds_read_u16 v22, v4 offset:1596
	;; [unrolled: 1-line block ×3, first 2 shown]
.LBB0_15:
	s_or_b32 exec_lo, exec_lo, s1
	v_and_b32_e32 v44, 3, v0
	v_and_b32_e32 v45, 3, v1
	;; [unrolled: 1-line block ×5, first 2 shown]
	v_lshlrev_b32_e32 v27, 3, v44
	v_lshlrev_b32_e32 v43, 3, v45
	v_lshrrev_b32_e32 v60, 2, v1
	v_lshrrev_b32_e32 v61, 2, v8
	;; [unrolled: 1-line block ×3, first 2 shown]
	s_clause 0x1
	global_load_dwordx2 v[79:80], v27, s[8:9] offset:8
	global_load_dwordx2 v[74:75], v43, s[8:9] offset:8
	v_lshlrev_b32_e32 v27, 3, v50
	v_lshlrev_b32_e32 v43, 3, v52
	v_lshrrev_b32_e32 v64, 2, v6
	v_lshrrev_b32_e32 v62, 2, v5
	v_mul_u32_u24_e32 v60, 12, v60
	s_clause 0x1
	global_load_dwordx2 v[81:82], v27, s[8:9] offset:8
	global_load_dwordx2 v[83:84], v43, s[8:9] offset:8
	v_and_b32_e32 v27, 3, v9
	v_lshlrev_b32_e32 v43, 3, v55
	v_mul_u32_u24_e32 v61, 12, v61
	v_mul_u32_u24_e32 v63, 12, v63
	;; [unrolled: 1-line block ×3, first 2 shown]
	v_lshlrev_b32_e32 v56, 3, v27
	s_clause 0x1
	global_load_dwordx2 v[85:86], v43, s[8:9] offset:8
	global_load_dwordx2 v[87:88], v56, s[8:9] offset:8
	v_lshrrev_b32_e32 v56, 2, v0
	v_mul_u32_u24_e32 v62, 12, v62
	v_or_b32_e32 v45, v60, v45
	v_or_b32_e32 v50, v61, v50
	;; [unrolled: 1-line block ×3, first 2 shown]
	v_mul_u32_u24_e32 v56, 12, v56
	v_or_b32_e32 v60, v62, v52
	v_lshl_add_u32 v55, v45, 1, 0
	v_lshl_add_u32 v52, v50, 1, 0
	v_lshrrev_b32_e32 v43, 2, v9
	v_or_b32_e32 v56, v56, v44
	v_or_b32_e32 v44, v63, v44
	v_lshl_add_u32 v50, v60, 1, 0
	s_waitcnt vmcnt(0) lgkmcnt(0)
	s_barrier
	v_lshl_add_u32 v56, v56, 1, 0
	v_lshl_add_u32 v45, v44, 1, 0
	;; [unrolled: 1-line block ×3, first 2 shown]
	buffer_gl0_inv
	v_mul_f16_sdwa v72, v57, v79 dst_sel:DWORD dst_unused:UNUSED_PAD src0_sel:DWORD src1_sel:WORD_1
	v_mul_f16_sdwa v73, v58, v80 dst_sel:DWORD dst_unused:UNUSED_PAD src0_sel:DWORD src1_sel:WORD_1
	;; [unrolled: 1-line block ×15, first 2 shown]
	v_fmac_f16_e32 v72, v36, v79
	v_fmac_f16_e32 v73, v38, v80
	v_mul_f16_sdwa v60, v48, v85 dst_sel:DWORD dst_unused:UNUSED_PAD src0_sel:DWORD src1_sel:WORD_1
	v_mul_f16_sdwa v61, v22, v87 dst_sel:DWORD dst_unused:UNUSED_PAD src0_sel:DWORD src1_sel:WORD_1
	;; [unrolled: 1-line block ×6, first 2 shown]
	v_fmac_f16_e32 v61, v13, v87
	v_fmac_f16_e32 v63, v35, v88
	;; [unrolled: 1-line block ×4, first 2 shown]
	v_mul_f16_sdwa v90, v37, v81 dst_sel:DWORD dst_unused:UNUSED_PAD src0_sel:DWORD src1_sel:WORD_1
	v_mul_f16_sdwa v91, v30, v82 dst_sel:DWORD dst_unused:UNUSED_PAD src0_sel:DWORD src1_sel:WORD_1
	;; [unrolled: 1-line block ×7, first 2 shown]
	v_fma_f16 v77, v47, v74, -v77
	v_fma_f16 v74, v42, v75, -v78
	v_fmac_f16_e32 v68, v37, v81
	v_fmac_f16_e32 v70, v30, v82
	v_fma_f16 v78, v57, v79, -v76
	v_fma_f16 v76, v58, v80, -v89
	v_fmac_f16_e32 v64, v33, v83
	v_fmac_f16_e32 v66, v28, v84
	;; [unrolled: 1-line block ×3, first 2 shown]
	v_fma_f16 v57, v46, v79, -v94
	v_fmac_f16_e32 v67, v34, v80
	v_fmac_f16_e32 v60, v31, v85
	;; [unrolled: 1-line block ×3, first 2 shown]
	v_fma_f16 v46, v22, v87, -v98
	v_fma_f16 v29, v53, v88, -v99
	v_add_f16_e32 v22, v72, v73
	v_add_f16_e32 v79, v61, v63
	;; [unrolled: 1-line block ×3, first 2 shown]
	v_fma_f16 v75, v59, v81, -v90
	v_fma_f16 v59, v41, v82, -v91
	;; [unrolled: 1-line block ×7, first 2 shown]
	v_add_f16_e32 v13, v21, v72
	v_sub_f16_e32 v23, v78, v76
	v_add_f16_e32 v34, v68, v70
	v_add_f16_e32 v36, v17, v64
	;; [unrolled: 1-line block ×6, first 2 shown]
	v_sub_f16_e32 v80, v46, v29
	v_fmac_f16_e32 v21, -0.5, v22
	v_fmac_f16_e32 v10, -0.5, v79
	v_add_f16_e32 v30, v20, v69
	v_sub_f16_e32 v32, v77, v74
	v_fmac_f16_e32 v20, -0.5, v31
	v_add_f16_e32 v33, v19, v68
	v_sub_f16_e32 v35, v75, v59
	v_sub_f16_e32 v38, v58, v51
	v_add_f16_e32 v39, v14, v65
	v_sub_f16_e32 v41, v57, v47
	v_add_f16_e32 v48, v18, v60
	;; [unrolled: 2-line block ×3, first 2 shown]
	v_fmac_f16_e32 v19, -0.5, v34
	v_add_f16_e32 v31, v36, v66
	v_fmac_f16_e32 v17, -0.5, v37
	v_fmac_f16_e32 v14, -0.5, v40
	;; [unrolled: 1-line block ×3, first 2 shown]
	v_add_f16_e32 v13, v54, v63
	v_fmamk_f16 v36, v23, 0xbaee, v21
	v_fmac_f16_e32 v21, 0x3aee, v23
	v_fmamk_f16 v23, v80, 0xbaee, v10
	v_fmac_f16_e32 v10, 0x3aee, v80
	v_add_f16_e32 v22, v30, v71
	v_fmamk_f16 v37, v32, 0xbaee, v20
	v_add_f16_e32 v30, v33, v70
	v_add_f16_e32 v33, v39, v67
	;; [unrolled: 1-line block ×3, first 2 shown]
	v_fmac_f16_e32 v20, 0x3aee, v32
	v_fmamk_f16 v32, v35, 0xbaee, v19
	v_fmac_f16_e32 v19, 0x3aee, v35
	v_fmamk_f16 v35, v38, 0xbaee, v17
	;; [unrolled: 2-line block ×4, first 2 shown]
	v_fmac_f16_e32 v18, 0x3aee, v53
	ds_write_b16 v56, v81
	ds_write_b16 v56, v36 offset:8
	ds_write_b16 v56, v21 offset:16
	ds_write_b16 v55, v22
	ds_write_b16 v55, v37 offset:8
	ds_write_b16 v55, v20 offset:16
	;; [unrolled: 3-line block ×6, first 2 shown]
	s_and_saveexec_b32 s1, s0
	s_cbranch_execz .LBB0_17
; %bb.16:
	v_mul_u32_u24_e32 v14, 12, v43
	v_or_b32_e32 v14, v14, v27
	v_lshl_add_u32 v14, v14, 1, 0
	ds_write_b16 v14, v13
	ds_write_b16 v14, v23 offset:8
	ds_write_b16 v14, v10 offset:16
.LBB0_17:
	s_or_b32 exec_lo, exec_lo, s1
	s_waitcnt lgkmcnt(0)
	s_barrier
	buffer_gl0_inv
	ds_read_u16 v33, v4 offset:966
	ds_read_u16 v32, v4 offset:1806
	ds_read_u16 v31, v4 offset:1932
	ds_read_u16 v30, v4 offset:2058
	ds_read_u16 v22, v4
	ds_read_u16 v21, v4 offset:126
	ds_read_u16 v20, v4 offset:252
	ds_read_u16 v18, v4 offset:378
	ds_read_u16 v17, v4 offset:504
	ds_read_u16 v39, v4 offset:1092
	ds_read_u16 v37, v4 offset:1218
	ds_read_u16 v34, v4 offset:1344
	ds_read_u16 v40, v4 offset:840
	ds_read_u16 v19, v4 offset:630
	ds_read_u16 v41, v4 offset:1680
	ds_read_u16 v35, v4 offset:1470
	ds_read_u16 v38, v4 offset:2184
	ds_read_u16 v36, v4 offset:2310
	s_and_saveexec_b32 s1, s0
	s_cbranch_execz .LBB0_19
; %bb.18:
	ds_read_u16 v13, v4 offset:756
	ds_read_u16 v23, v4 offset:1596
	;; [unrolled: 1-line block ×3, first 2 shown]
.LBB0_19:
	s_or_b32 exec_lo, exec_lo, s1
	v_add_f16_e32 v14, v78, v76
	v_add_f16_e32 v48, v26, v78
	v_sub_f16_e32 v49, v72, v73
	v_add_f16_e32 v53, v77, v74
	v_add_f16_e32 v54, v75, v59
	v_fmac_f16_e32 v26, -0.5, v14
	v_add_f16_e32 v14, v25, v77
	v_add_f16_e32 v48, v48, v76
	v_fmac_f16_e32 v25, -0.5, v53
	s_waitcnt lgkmcnt(0)
	v_fmamk_f16 v53, v49, 0x3aee, v26
	v_fmac_f16_e32 v26, 0xbaee, v49
	v_sub_f16_e32 v49, v69, v71
	v_add_f16_e32 v69, v14, v74
	v_add_f16_e32 v14, v24, v75
	v_fmac_f16_e32 v24, -0.5, v54
	v_sub_f16_e32 v54, v68, v70
	v_fmamk_f16 v68, v49, 0x3aee, v25
	v_fmac_f16_e32 v25, 0xbaee, v49
	v_add_f16_e32 v49, v14, v59
	v_add_f16_e32 v14, v58, v51
	v_fmamk_f16 v59, v54, 0x3aee, v24
	v_fmac_f16_e32 v24, 0xbaee, v54
	v_add_f16_e32 v54, v57, v47
	v_add_f16_e32 v58, v15, v58
	v_fmac_f16_e32 v15, -0.5, v14
	v_sub_f16_e32 v14, v64, v66
	v_add_f16_e32 v57, v12, v57
	v_fmac_f16_e32 v12, -0.5, v54
	v_sub_f16_e32 v54, v65, v67
	v_add_f16_e32 v51, v58, v51
	v_fmamk_f16 v58, v14, 0x3aee, v15
	v_fmac_f16_e32 v15, 0xbaee, v14
	v_add_f16_e32 v47, v57, v47
	v_add_f16_e32 v14, v42, v28
	v_fmamk_f16 v57, v54, 0x3aee, v12
	v_fmac_f16_e32 v12, 0xbaee, v54
	v_add_f16_e32 v54, v46, v29
	v_add_f16_e32 v42, v16, v42
	v_fmac_f16_e32 v16, -0.5, v14
	v_sub_f16_e32 v14, v60, v62
	v_add_f16_e32 v46, v11, v46
	v_fmac_f16_e32 v11, -0.5, v54
	v_sub_f16_e32 v54, v61, v63
	v_add_f16_e32 v28, v42, v28
	v_fmamk_f16 v60, v14, 0x3aee, v16
	v_fmac_f16_e32 v16, 0xbaee, v14
	v_add_f16_e32 v14, v46, v29
	v_fmamk_f16 v42, v54, 0x3aee, v11
	v_fmac_f16_e32 v11, 0xbaee, v54
	s_barrier
	buffer_gl0_inv
	ds_write_b16 v56, v48
	ds_write_b16 v56, v53 offset:8
	ds_write_b16 v56, v26 offset:16
	ds_write_b16 v55, v69
	ds_write_b16 v55, v68 offset:8
	ds_write_b16 v55, v25 offset:16
	;; [unrolled: 3-line block ×6, first 2 shown]
	s_and_saveexec_b32 s1, s0
	s_cbranch_execz .LBB0_21
; %bb.20:
	v_mul_u32_u24_e32 v12, 12, v43
	v_or_b32_e32 v12, v12, v27
	v_lshl_add_u32 v12, v12, 1, 0
	ds_write_b16 v12, v14
	ds_write_b16 v12, v42 offset:8
	ds_write_b16 v12, v11 offset:16
.LBB0_21:
	s_or_b32 exec_lo, exec_lo, s1
	s_waitcnt lgkmcnt(0)
	s_barrier
	buffer_gl0_inv
	ds_read_u16 v46, v4 offset:966
	ds_read_u16 v45, v4 offset:1806
	;; [unrolled: 1-line block ×4, first 2 shown]
	ds_read_u16 v29, v4
	ds_read_u16 v28, v4 offset:126
	ds_read_u16 v27, v4 offset:252
	;; [unrolled: 1-line block ×13, first 2 shown]
	s_and_saveexec_b32 s1, s0
	s_cbranch_execz .LBB0_23
; %bb.22:
	ds_read_u16 v14, v4 offset:756
	ds_read_u16 v42, v4 offset:1596
	;; [unrolled: 1-line block ×3, first 2 shown]
.LBB0_23:
	s_or_b32 exec_lo, exec_lo, s1
	v_and_b32_e32 v15, 0xff, v0
	v_and_b32_e32 v12, 0xff, v1
	;; [unrolled: 1-line block ×3, first 2 shown]
	v_mov_b32_e32 v57, 0xaaab
	v_mov_b32_e32 v55, 3
	v_mul_lo_u16 v56, 0xab, v15
	v_mul_lo_u16 v58, 0xab, v12
	v_and_b32_e32 v15, 0xff, v5
	v_mul_lo_u16 v59, 0xab, v16
	v_mul_u32_u24_sdwa v61, v7, v57 dst_sel:DWORD dst_unused:UNUSED_PAD src0_sel:WORD_0 src1_sel:DWORD
	v_lshrrev_b16 v56, 11, v56
	v_lshrrev_b16 v58, 11, v58
	v_mul_lo_u16 v60, 0xab, v15
	v_lshrrev_b16 v59, 11, v59
	v_lshrrev_b32_e32 v61, 19, v61
	v_mul_lo_u16 v63, v56, 12
	v_mul_lo_u16 v64, v58, 12
	v_lshrrev_b16 v60, 11, v60
	v_mul_lo_u16 v65, v59, 12
	v_mul_u32_u24_sdwa v62, v6, v57 dst_sel:DWORD dst_unused:UNUSED_PAD src0_sel:WORD_0 src1_sel:DWORD
	v_sub_nc_u16 v63, v0, v63
	v_sub_nc_u16 v64, v1, v64
	v_mul_lo_u16 v67, v60, 12
	v_mul_u32_u24_sdwa v57, v9, v57 dst_sel:DWORD dst_unused:UNUSED_PAD src0_sel:WORD_0 src1_sel:DWORD
	v_sub_nc_u16 v65, v8, v65
	v_lshlrev_b32_sdwa v66, v55, v63 dst_sel:DWORD dst_unused:UNUSED_PAD src0_sel:DWORD src1_sel:BYTE_0
	v_lshlrev_b32_sdwa v68, v55, v64 dst_sel:DWORD dst_unused:UNUSED_PAD src0_sel:DWORD src1_sel:BYTE_0
	v_sub_nc_u16 v69, v5, v67
	v_lshrrev_b32_e32 v62, 19, v62
	v_lshrrev_b32_e32 v57, 19, v57
	s_clause 0x1
	global_load_dwordx2 v[76:77], v66, s[8:9] offset:40
	global_load_dwordx2 v[78:79], v68, s[8:9] offset:40
	v_mul_lo_u16 v66, v61, 12
	v_lshlrev_b32_sdwa v67, v55, v65 dst_sel:DWORD dst_unused:UNUSED_PAD src0_sel:DWORD src1_sel:BYTE_0
	v_mul_lo_u16 v68, v62, 12
	v_mul_u32_u24_e32 v62, 0x48, v62
	v_mul_u32_u24_e32 v61, 0x48, v61
	v_sub_nc_u16 v66, v7, v66
	v_lshlrev_b32_sdwa v7, v55, v69 dst_sel:DWORD dst_unused:UNUSED_PAD src0_sel:DWORD src1_sel:BYTE_0
	global_load_dwordx2 v[80:81], v67, s[8:9] offset:40
	v_sub_nc_u16 v68, v6, v68
	v_lshlrev_b32_sdwa v70, v55, v66 dst_sel:DWORD dst_unused:UNUSED_PAD src0_sel:DWORD src1_sel:WORD_0
	s_clause 0x1
	global_load_dwordx2 v[84:85], v70, s[8:9] offset:40
	global_load_dwordx2 v[82:83], v7, s[8:9] offset:40
	v_mul_lo_u16 v67, v57, 12
	v_lshlrev_b32_sdwa v7, v55, v68 dst_sel:DWORD dst_unused:UNUSED_PAD src0_sel:DWORD src1_sel:WORD_0
	v_sub_nc_u16 v6, v9, v67
	v_mov_b32_e32 v67, 1
	v_lshlrev_b32_sdwa v9, v55, v6 dst_sel:DWORD dst_unused:UNUSED_PAD src0_sel:DWORD src1_sel:WORD_0
	s_clause 0x1
	global_load_dwordx2 v[86:87], v7, s[8:9] offset:40
	global_load_dwordx2 v[88:89], v9, s[8:9] offset:40
	v_mov_b32_e32 v7, 0x48
	s_waitcnt vmcnt(0) lgkmcnt(0)
	s_barrier
	buffer_gl0_inv
	v_mul_u32_u24_sdwa v9, v56, v7 dst_sel:DWORD dst_unused:UNUSED_PAD src0_sel:WORD_0 src1_sel:DWORD
	v_mul_u32_u24_sdwa v55, v58, v7 dst_sel:DWORD dst_unused:UNUSED_PAD src0_sel:WORD_0 src1_sel:DWORD
	;; [unrolled: 1-line block ×4, first 2 shown]
	v_mul_lo_u16 v7, v57, 36
	v_lshlrev_b32_sdwa v57, v67, v63 dst_sel:DWORD dst_unused:UNUSED_PAD src0_sel:DWORD src1_sel:BYTE_0
	v_lshlrev_b32_sdwa v58, v67, v64 dst_sel:DWORD dst_unused:UNUSED_PAD src0_sel:DWORD src1_sel:BYTE_0
	;; [unrolled: 1-line block ×4, first 2 shown]
	v_lshlrev_b32_sdwa v65, v67, v66 dst_sel:DWORD dst_unused:UNUSED_PAD src0_sel:DWORD src1_sel:WORD_0
	v_lshlrev_b32_sdwa v66, v67, v68 dst_sel:DWORD dst_unused:UNUSED_PAD src0_sel:DWORD src1_sel:WORD_0
	v_add3_u32 v60, 0, v9, v57
	v_add3_u32 v59, 0, v55, v58
	;; [unrolled: 1-line block ×6, first 2 shown]
	v_mul_f16_sdwa v74, v53, v76 dst_sel:DWORD dst_unused:UNUSED_PAD src0_sel:DWORD src1_sel:WORD_1
	v_mul_f16_sdwa v75, v54, v77 dst_sel:DWORD dst_unused:UNUSED_PAD src0_sel:DWORD src1_sel:WORD_1
	;; [unrolled: 1-line block ×5, first 2 shown]
	v_fmac_f16_e32 v74, v40, v76
	v_fmac_f16_e32 v75, v41, v77
	v_mul_f16_sdwa v90, v41, v77 dst_sel:DWORD dst_unused:UNUSED_PAD src0_sel:DWORD src1_sel:WORD_1
	v_mul_f16_sdwa v91, v33, v78 dst_sel:DWORD dst_unused:UNUSED_PAD src0_sel:DWORD src1_sel:WORD_1
	;; [unrolled: 1-line block ×6, first 2 shown]
	v_fmac_f16_e32 v72, v33, v78
	v_fmac_f16_e32 v73, v32, v79
	v_mul_f16_sdwa v94, v31, v81 dst_sel:DWORD dst_unused:UNUSED_PAD src0_sel:DWORD src1_sel:WORD_1
	v_fmac_f16_e32 v69, v39, v80
	v_mul_f16_sdwa v62, v47, v84 dst_sel:DWORD dst_unused:UNUSED_PAD src0_sel:DWORD src1_sel:WORD_1
	v_mul_f16_sdwa v68, v50, v82 dst_sel:DWORD dst_unused:UNUSED_PAD src0_sel:DWORD src1_sel:WORD_1
	;; [unrolled: 1-line block ×8, first 2 shown]
	v_fma_f16 v41, v52, v80, -v93
	v_fmac_f16_e32 v71, v31, v81
	v_fmac_f16_e32 v68, v37, v82
	;; [unrolled: 1-line block ×5, first 2 shown]
	v_fma_f16 v76, v53, v76, -v9
	v_mul_f16_sdwa v61, v48, v86 dst_sel:DWORD dst_unused:UNUSED_PAD src0_sel:DWORD src1_sel:WORD_1
	v_mul_f16_sdwa v64, v42, v88 dst_sel:DWORD dst_unused:UNUSED_PAD src0_sel:DWORD src1_sel:WORD_1
	;; [unrolled: 1-line block ×6, first 2 shown]
	v_fmac_f16_e32 v64, v23, v88
	v_fmac_f16_e32 v66, v10, v89
	v_mul_f16_sdwa v99, v35, v86 dst_sel:DWORD dst_unused:UNUSED_PAD src0_sel:DWORD src1_sel:WORD_1
	v_mul_f16_sdwa v100, v36, v87 dst_sel:DWORD dst_unused:UNUSED_PAD src0_sel:DWORD src1_sel:WORD_1
	v_fmac_f16_e32 v61, v35, v86
	v_fmac_f16_e32 v63, v36, v87
	v_fma_f16 v38, v42, v88, -v101
	v_fma_f16 v37, v11, v89, -v102
	v_add_f16_e32 v11, v74, v75
	v_add_f16_e32 v80, v64, v66
	v_fma_f16 v53, v54, v77, -v90
	v_fma_f16 v46, v46, v78, -v91
	;; [unrolled: 1-line block ×3, first 2 shown]
	v_add_f16_e32 v36, v72, v73
	v_fma_f16 v39, v44, v81, -v94
	v_fma_f16 v40, v50, v82, -v95
	;; [unrolled: 1-line block ×7, first 2 shown]
	v_add_f16_e32 v9, v22, v74
	v_add_f16_e32 v44, v69, v71
	;; [unrolled: 1-line block ×5, first 2 shown]
	v_sub_f16_e32 v10, v38, v37
	v_fmac_f16_e32 v22, -0.5, v11
	v_fma_f16 v11, -0.5, v80, v13
	v_sub_f16_e32 v23, v76, v53
	v_add_f16_e32 v35, v21, v72
	v_sub_f16_e32 v42, v46, v45
	v_fmac_f16_e32 v21, -0.5, v36
	v_add_f16_e32 v43, v20, v69
	v_sub_f16_e32 v47, v41, v39
	v_add_f16_e32 v48, v18, v68
	v_sub_f16_e32 v50, v40, v33
	;; [unrolled: 2-line block ×4, first 2 shown]
	v_add_f16_e32 v81, v9, v75
	v_fmac_f16_e32 v20, -0.5, v44
	v_fmac_f16_e32 v18, -0.5, v49
	;; [unrolled: 1-line block ×4, first 2 shown]
	v_fmamk_f16 v9, v10, 0x3aee, v11
	v_fmamk_f16 v49, v23, 0xbaee, v22
	v_fmac_f16_e32 v22, 0x3aee, v23
	v_add_f16_e32 v35, v35, v73
	v_fmamk_f16 v23, v42, 0xbaee, v21
	v_add_f16_e32 v36, v43, v71
	v_add_f16_e32 v43, v48, v70
	;; [unrolled: 1-line block ×4, first 2 shown]
	v_fmac_f16_e32 v21, 0x3aee, v42
	v_fmamk_f16 v42, v47, 0xbaee, v20
	v_fmac_f16_e32 v20, 0x3aee, v47
	v_fmamk_f16 v47, v50, 0xbaee, v18
	;; [unrolled: 2-line block ×4, first 2 shown]
	v_fmac_f16_e32 v19, 0x3aee, v79
	ds_write_b16 v60, v81
	ds_write_b16 v60, v49 offset:24
	ds_write_b16 v60, v22 offset:48
	ds_write_b16 v59, v35
	ds_write_b16 v59, v23 offset:24
	ds_write_b16 v59, v21 offset:48
	;; [unrolled: 3-line block ×6, first 2 shown]
	s_and_saveexec_b32 s1, s0
	s_cbranch_execz .LBB0_25
; %bb.24:
	v_add_f16_e32 v13, v13, v64
	v_lshlrev_b32_sdwa v17, v67, v6 dst_sel:DWORD dst_unused:UNUSED_PAD src0_sel:DWORD src1_sel:WORD_0
	v_lshlrev_b32_sdwa v18, v67, v7 dst_sel:DWORD dst_unused:UNUSED_PAD src0_sel:DWORD src1_sel:WORD_0
	v_mul_f16_e32 v10, 0x3aee, v10
	v_add_f16_e32 v13, v13, v66
	v_add3_u32 v17, 0, v17, v18
	v_sub_f16_e32 v10, v11, v10
	ds_write_b16 v17, v13
	ds_write_b16 v17, v10 offset:24
	ds_write_b16 v17, v9 offset:48
.LBB0_25:
	s_or_b32 exec_lo, exec_lo, s1
	v_add_f16_e32 v10, v76, v53
	v_add_f16_e32 v11, v29, v76
	v_sub_f16_e32 v13, v74, v75
	v_add_f16_e32 v17, v46, v45
	v_sub_f16_e32 v18, v72, v73
	v_fmac_f16_e32 v29, -0.5, v10
	v_add_f16_e32 v10, v28, v46
	v_add_f16_e32 v46, v11, v53
	;; [unrolled: 1-line block ×3, first 2 shown]
	v_fmac_f16_e32 v28, -0.5, v17
	v_fmamk_f16 v47, v13, 0x3aee, v29
	v_fmac_f16_e32 v29, 0xbaee, v13
	v_add_f16_e32 v13, v40, v33
	v_add_f16_e32 v45, v10, v45
	;; [unrolled: 1-line block ×5, first 2 shown]
	v_fmac_f16_e32 v25, -0.5, v13
	v_sub_f16_e32 v13, v68, v70
	v_fmac_f16_e32 v27, -0.5, v10
	v_sub_f16_e32 v10, v69, v71
	v_add_f16_e32 v17, v34, v32
	v_add_f16_e32 v51, v11, v33
	v_fmamk_f16 v52, v13, 0x3aee, v25
	v_fmac_f16_e32 v25, 0xbaee, v13
	v_add_f16_e32 v13, v31, v30
	v_fmamk_f16 v50, v10, 0x3aee, v27
	v_fmac_f16_e32 v27, 0xbaee, v10
	v_add_f16_e32 v10, v24, v34
	v_fmac_f16_e32 v24, -0.5, v17
	v_sub_f16_e32 v11, v62, v65
	v_add_f16_e32 v17, v26, v31
	v_fmac_f16_e32 v26, -0.5, v13
	v_sub_f16_e32 v13, v61, v63
	v_fmamk_f16 v48, v18, 0x3aee, v28
	v_fmac_f16_e32 v28, 0xbaee, v18
	v_add_f16_e32 v53, v10, v32
	v_fmamk_f16 v54, v11, 0x3aee, v24
	v_fmac_f16_e32 v24, 0xbaee, v11
	v_add_f16_e32 v61, v17, v30
	v_fmamk_f16 v62, v13, 0x3aee, v26
	v_fmac_f16_e32 v26, 0xbaee, v13
	s_waitcnt lgkmcnt(0)
	s_barrier
	buffer_gl0_inv
	ds_read_u16 v18, v4
	ds_read_u16 v19, v4 offset:126
	ds_read_u16 v20, v4 offset:252
	;; [unrolled: 1-line block ×19, first 2 shown]
	v_add_f16_e32 v10, v38, v37
	v_sub_f16_e32 v40, v64, v66
	s_waitcnt lgkmcnt(0)
	s_barrier
	buffer_gl0_inv
	v_fma_f16 v39, -0.5, v10, v14
	ds_write_b16 v60, v46
	ds_write_b16 v60, v47 offset:24
	ds_write_b16 v60, v29 offset:48
	ds_write_b16 v59, v45
	ds_write_b16 v59, v48 offset:24
	ds_write_b16 v59, v28 offset:48
	ds_write_b16 v58, v49
	ds_write_b16 v58, v50 offset:24
	ds_write_b16 v58, v27 offset:48
	ds_write_b16 v57, v51
	ds_write_b16 v57, v52 offset:24
	ds_write_b16 v57, v25 offset:48
	ds_write_b16 v56, v53
	ds_write_b16 v56, v54 offset:24
	ds_write_b16 v56, v24 offset:48
	ds_write_b16 v55, v61
	ds_write_b16 v55, v62 offset:24
	ds_write_b16 v55, v26 offset:48
	v_fmamk_f16 v10, v40, 0xbaee, v39
	s_and_saveexec_b32 s1, s0
	s_cbranch_execz .LBB0_27
; %bb.26:
	v_mov_b32_e32 v24, 1
	v_add_f16_e32 v14, v14, v38
	v_lshlrev_b32_sdwa v6, v24, v6 dst_sel:DWORD dst_unused:UNUSED_PAD src0_sel:DWORD src1_sel:WORD_0
	v_lshlrev_b32_sdwa v7, v24, v7 dst_sel:DWORD dst_unused:UNUSED_PAD src0_sel:DWORD src1_sel:WORD_0
	v_mul_f16_e32 v24, 0x3aee, v40
	v_add_f16_e32 v14, v14, v37
	v_add3_u32 v6, 0, v6, v7
	v_add_f16_e32 v7, v24, v39
	ds_write_b16 v6, v14
	ds_write_b16 v6, v7 offset:24
	ds_write_b16 v6, v10 offset:48
.LBB0_27:
	s_or_b32 exec_lo, exec_lo, s1
	v_mul_lo_u16 v6, v16, 57
	v_mul_lo_u16 v12, v12, 57
	v_cmp_gt_u32_e64 s0, 36, v0
	s_waitcnt lgkmcnt(0)
	s_barrier
	v_lshrrev_b16 v14, 11, v6
	v_mul_lo_u16 v6, v15, 57
	v_lshrrev_b16 v29, 11, v12
	v_subrev_nc_u32_e32 v12, 36, v0
	v_mov_b32_e32 v15, 4
	v_mul_lo_u16 v7, v14, 36
	v_lshrrev_b16 v16, 11, v6
	v_mul_lo_u16 v37, v29, 36
	v_cndmask_b32_e64 v39, v12, v0, s0
	buffer_gl0_inv
	v_sub_nc_u16 v24, v8, v7
	v_mul_lo_u16 v6, v16, 36
	v_sub_nc_u16 v37, v1, v37
	v_mov_b32_e32 v40, 0x168
	v_mov_b32_e32 v45, 1
	v_lshlrev_b32_sdwa v7, v15, v24 dst_sel:DWORD dst_unused:UNUSED_PAD src0_sel:DWORD src1_sel:BYTE_0
	v_sub_nc_u16 v38, v5, v6
	v_mov_b32_e32 v6, 0
	v_lshlrev_b32_e32 v5, 2, v39
	v_lshlrev_b32_e32 v39, 1, v39
	global_load_dwordx4 v[25:28], v7, s[8:9] offset:136
	v_mul_u32_u24_sdwa v29, v29, v40 dst_sel:DWORD dst_unused:UNUSED_PAD src0_sel:WORD_0 src1_sel:DWORD
	v_mul_u32_u24_sdwa v14, v14, v40 dst_sel:DWORD dst_unused:UNUSED_PAD src0_sel:WORD_0 src1_sel:DWORD
	v_lshlrev_b64 v[5:6], 2, v[5:6]
	v_mul_u32_u24_sdwa v16, v16, v40 dst_sel:DWORD dst_unused:UNUSED_PAD src0_sel:WORD_0 src1_sel:DWORD
	v_lshlrev_b32_sdwa v24, v45, v24 dst_sel:DWORD dst_unused:UNUSED_PAD src0_sel:DWORD src1_sel:BYTE_0
	v_add_co_u32 v5, s0, s8, v5
	v_add_co_ci_u32_e64 v6, s0, s9, v6, s0
	v_cmp_lt_u32_e64 s0, 35, v0
	global_load_dwordx4 v[75:78], v[5:6], off offset:136
	v_lshlrev_b32_sdwa v7, v15, v38 dst_sel:DWORD dst_unused:UNUSED_PAD src0_sel:DWORD src1_sel:BYTE_0
	v_cndmask_b32_e64 v46, 0, 0x168, s0
	v_cmp_gt_u32_e64 s0, 54, v0
	global_load_dwordx4 v[67:70], v7, s[8:9] offset:136
	v_lshlrev_b32_sdwa v7, v15, v37 dst_sel:DWORD dst_unused:UNUSED_PAD src0_sel:DWORD src1_sel:BYTE_0
	v_lshlrev_b32_sdwa v37, v45, v37 dst_sel:DWORD dst_unused:UNUSED_PAD src0_sel:DWORD src1_sel:BYTE_0
	;; [unrolled: 1-line block ×3, first 2 shown]
	v_add3_u32 v40, 0, v46, v39
	v_add3_u32 v38, 0, v14, v24
	global_load_dwordx4 v[71:74], v7, s[8:9] offset:136
	ds_read_u16 v7, v4
	ds_read_u16 v6, v4 offset:126
	ds_read_u16 v5, v4 offset:252
	;; [unrolled: 1-line block ×19, first 2 shown]
	v_add3_u32 v39, 0, v29, v37
	v_add3_u32 v37, 0, v16, v45
	s_waitcnt vmcnt(0) lgkmcnt(0)
	s_barrier
	buffer_gl0_inv
	v_mul_f16_sdwa v51, v52, v25 dst_sel:DWORD dst_unused:UNUSED_PAD src0_sel:DWORD src1_sel:WORD_1
	v_mul_f16_sdwa v49, v48, v26 dst_sel:DWORD dst_unused:UNUSED_PAD src0_sel:DWORD src1_sel:WORD_1
	;; [unrolled: 1-line block ×7, first 2 shown]
	v_fmac_f16_e32 v51, v36, v25
	v_fmac_f16_e32 v49, v33, v26
	;; [unrolled: 1-line block ×4, first 2 shown]
	v_mul_f16_sdwa v88, v44, v28 dst_sel:DWORD dst_unused:UNUSED_PAD src0_sel:DWORD src1_sel:WORD_1
	v_fma_f16 v52, v52, v25, -v14
	v_fma_f16 v53, v48, v26, -v16
	;; [unrolled: 1-line block ×3, first 2 shown]
	v_add_f16_e32 v14, v49, v50
	v_mul_f16_sdwa v64, v15, v76 dst_sel:DWORD dst_unused:UNUSED_PAD src0_sel:DWORD src1_sel:WORD_1
	v_mul_f16_sdwa v65, v83, v77 dst_sel:DWORD dst_unused:UNUSED_PAD src0_sel:DWORD src1_sel:WORD_1
	;; [unrolled: 1-line block ×16, first 2 shown]
	v_fmac_f16_e32 v46, v34, v67
	v_fmac_f16_e32 v24, v41, v68
	;; [unrolled: 1-line block ×6, first 2 shown]
	v_mul_f16_sdwa v90, v41, v68 dst_sel:DWORD dst_unused:UNUSED_PAD src0_sel:DWORD src1_sel:WORD_1
	v_mul_f16_sdwa v98, v13, v76 dst_sel:DWORD dst_unused:UNUSED_PAD src0_sel:DWORD src1_sel:WORD_1
	;; [unrolled: 1-line block ×3, first 2 shown]
	v_fmac_f16_e32 v63, v21, v75
	v_fmac_f16_e32 v66, v23, v78
	v_mul_f16_sdwa v93, v30, v71 dst_sel:DWORD dst_unused:UNUSED_PAD src0_sel:DWORD src1_sel:WORD_1
	v_mul_f16_sdwa v94, v17, v72 dst_sel:DWORD dst_unused:UNUSED_PAD src0_sel:DWORD src1_sel:WORD_1
	;; [unrolled: 1-line block ×4, first 2 shown]
	v_fmac_f16_e32 v59, v30, v71
	v_fmac_f16_e32 v57, v17, v72
	;; [unrolled: 1-line block ×4, first 2 shown]
	v_mul_f16_sdwa v92, v42, v70 dst_sel:DWORD dst_unused:UNUSED_PAD src0_sel:DWORD src1_sel:WORD_1
	v_fma_f16 v43, v62, v67, -v89
	v_fma_f16 v48, v81, v69, -v91
	;; [unrolled: 1-line block ×4, first 2 shown]
	v_add_f16_e32 v13, v20, v51
	v_add_f16_e32 v25, v51, v55
	v_sub_f16_e32 v26, v49, v51
	v_sub_f16_e32 v27, v50, v55
	v_sub_f16_e32 v36, v24, v46
	v_sub_f16_e32 v69, v45, v47
	v_add_f16_e32 v80, v64, v65
	v_fma_f16 v44, v84, v68, -v90
	v_fma_f16 v68, v15, v76, -v98
	;; [unrolled: 1-line block ×3, first 2 shown]
	v_add_f16_e32 v85, v63, v66
	v_fma_f16 v42, v79, v71, -v93
	v_fma_f16 v61, v61, v72, -v94
	;; [unrolled: 1-line block ×4, first 2 shown]
	v_add_f16_e32 v29, v24, v45
	v_add_f16_e32 v71, v57, v58
	;; [unrolled: 1-line block ×3, first 2 shown]
	v_fma_f16 v56, v56, v28, -v88
	v_fma_f16 v41, v87, v70, -v92
	v_sub_f16_e32 v15, v51, v49
	v_sub_f16_e32 v16, v55, v50
	v_add_f16_e32 v28, v11, v46
	v_add_f16_e32 v35, v46, v47
	;; [unrolled: 1-line block ×4, first 2 shown]
	v_sub_f16_e32 v81, v67, v22
	v_add_f16_e32 v88, v13, v49
	v_fma_f16 v13, -0.5, v14, v20
	v_fmac_f16_e32 v20, -0.5, v25
	v_add_f16_e32 v25, v26, v27
	v_add_f16_e32 v27, v36, v69
	v_fma_f16 v36, -0.5, v80, v18
	v_sub_f16_e32 v82, v68, v21
	v_fmac_f16_e32 v18, -0.5, v85
	v_sub_f16_e32 v23, v53, v54
	v_sub_f16_e32 v33, v46, v24
	;; [unrolled: 1-line block ×9, first 2 shown]
	v_fma_f16 v14, -0.5, v29, v11
	v_fma_f16 v29, -0.5, v71, v19
	v_fmac_f16_e32 v19, -0.5, v76
	v_sub_f16_e32 v17, v52, v56
	v_sub_f16_e32 v30, v43, v41
	;; [unrolled: 1-line block ×3, first 2 shown]
	v_add_f16_e32 v89, v15, v16
	v_add_f16_e32 v15, v28, v24
	v_fmac_f16_e32 v11, -0.5, v35
	v_add_f16_e32 v28, v70, v57
	v_add_f16_e32 v35, v79, v64
	v_sub_f16_e32 v83, v63, v64
	v_sub_f16_e32 v84, v66, v65
	v_fmamk_f16 v79, v81, 0xbb9c, v36
	v_sub_f16_e32 v86, v64, v63
	v_sub_f16_e32 v87, v65, v66
	v_fmamk_f16 v80, v82, 0x3b9c, v18
	v_fmac_f16_e32 v18, 0xbb9c, v82
	v_add_f16_e32 v26, v33, v34
	v_add_f16_e32 v33, v74, v75
	;; [unrolled: 1-line block ×3, first 2 shown]
	v_fmamk_f16 v75, v23, 0x3b9c, v20
	v_fmac_f16_e32 v20, 0xbb9c, v23
	v_fmamk_f16 v77, v72, 0xbb9c, v29
	v_fmac_f16_e32 v29, 0x3b9c, v72
	;; [unrolled: 2-line block ×3, first 2 shown]
	v_fmac_f16_e32 v36, 0x3b9c, v81
	v_fmamk_f16 v74, v17, 0xbb9c, v13
	v_fmac_f16_e32 v13, 0x3b9c, v17
	v_add_f16_e32 v76, v15, v45
	v_fmamk_f16 v15, v30, 0xbb9c, v14
	v_fmac_f16_e32 v14, 0x3b9c, v30
	v_fmamk_f16 v16, v31, 0x3b9c, v11
	v_fmac_f16_e32 v11, 0xbb9c, v31
	v_add_f16_e32 v28, v28, v58
	v_add_f16_e32 v35, v35, v65
	;; [unrolled: 1-line block ×3, first 2 shown]
	v_fmac_f16_e32 v79, 0xb8b4, v82
	v_add_f16_e32 v70, v86, v87
	v_fmac_f16_e32 v80, 0xb8b4, v81
	v_fmac_f16_e32 v18, 0x38b4, v81
	;; [unrolled: 1-line block ×6, first 2 shown]
	v_add_f16_e32 v71, v88, v50
	v_fmac_f16_e32 v74, 0xb8b4, v23
	v_fmac_f16_e32 v13, 0x38b4, v23
	v_fmac_f16_e32 v75, 0xb8b4, v17
	v_fmac_f16_e32 v15, 0xb8b4, v31
	v_fmac_f16_e32 v14, 0x38b4, v31
	v_fmac_f16_e32 v16, 0xb8b4, v30
	v_fmac_f16_e32 v11, 0x38b4, v30
	v_add_f16_e32 v23, v28, v60
	v_fmac_f16_e32 v77, 0xb8b4, v73
	v_fmac_f16_e32 v78, 0xb8b4, v72
	v_add_f16_e32 v28, v35, v66
	v_fmac_f16_e32 v79, 0x34f2, v69
	v_fmac_f16_e32 v80, 0x34f2, v70
	;; [unrolled: 1-line block ×7, first 2 shown]
	v_add_f16_e32 v71, v71, v55
	v_add_f16_e32 v17, v76, v47
	v_fmac_f16_e32 v74, 0x34f2, v89
	v_fmac_f16_e32 v13, 0x34f2, v89
	;; [unrolled: 1-line block ×9, first 2 shown]
	ds_write_b16 v40, v28
	ds_write_b16 v40, v79 offset:72
	ds_write_b16 v40, v80 offset:144
	ds_write_b16 v40, v18 offset:216
	ds_write_b16 v40, v36 offset:288
	ds_write_b16 v39, v23
	ds_write_b16 v39, v77 offset:72
	ds_write_b16 v39, v78 offset:144
	ds_write_b16 v39, v19 offset:216
	ds_write_b16 v39, v29 offset:288
	;; [unrolled: 5-line block ×4, first 2 shown]
	s_waitcnt lgkmcnt(0)
	s_barrier
	buffer_gl0_inv
	ds_read_u16 v19, v4
	ds_read_u16 v23, v4 offset:1440
	ds_read_u16 v30, v4 offset:1206
	;; [unrolled: 1-line block ×13, first 2 shown]
	s_and_saveexec_b32 s1, s0
	s_cbranch_execz .LBB0_29
; %bb.28:
	ds_read_u16 v13, v4 offset:252
	ds_read_u16 v17, v4 offset:612
	;; [unrolled: 1-line block ×7, first 2 shown]
.LBB0_29:
	s_or_b32 exec_lo, exec_lo, s1
	v_add_f16_e32 v18, v68, v21
	v_add_f16_e32 v69, v7, v67
	v_sub_f16_e32 v63, v63, v66
	v_sub_f16_e32 v64, v64, v65
	;; [unrolled: 1-line block ×3, first 2 shown]
	v_fma_f16 v66, -0.5, v18, v7
	v_sub_f16_e32 v18, v22, v21
	v_add_f16_e32 v69, v69, v68
	v_add_f16_e32 v70, v67, v22
	v_sub_f16_e32 v67, v68, v67
	v_fmamk_f16 v68, v63, 0x3b9c, v66
	v_add_f16_e32 v18, v65, v18
	v_add_f16_e32 v65, v69, v21
	v_fmac_f16_e32 v66, 0xbb9c, v63
	v_sub_f16_e32 v21, v21, v22
	v_fmac_f16_e32 v7, -0.5, v70
	v_fmac_f16_e32 v68, 0x38b4, v64
	v_add_f16_e32 v65, v65, v22
	v_add_f16_e32 v22, v6, v42
	v_fmac_f16_e32 v66, 0xb8b4, v64
	v_add_f16_e32 v70, v61, v62
	v_fmamk_f16 v69, v64, 0xbb9c, v7
	v_fmac_f16_e32 v68, 0x34f2, v18
	v_add_f16_e32 v22, v22, v61
	v_fmac_f16_e32 v7, 0x3b9c, v64
	v_fma_f16 v64, -0.5, v70, v6
	v_sub_f16_e32 v59, v59, v60
	v_fmac_f16_e32 v66, 0x34f2, v18
	v_add_f16_e32 v18, v22, v62
	v_add_f16_e32 v22, v42, v32
	v_fmac_f16_e32 v69, 0x38b4, v63
	v_add_f16_e32 v21, v67, v21
	v_fmac_f16_e32 v7, 0xb8b4, v63
	v_fmamk_f16 v60, v59, 0x3b9c, v64
	v_sub_f16_e32 v57, v57, v58
	v_sub_f16_e32 v58, v42, v61
	v_sub_f16_e32 v63, v32, v62
	v_fmac_f16_e32 v6, -0.5, v22
	v_add_f16_e32 v67, v18, v32
	v_fmac_f16_e32 v64, 0xbb9c, v59
	v_sub_f16_e32 v18, v61, v42
	v_sub_f16_e32 v22, v62, v32
	v_add_f16_e32 v32, v53, v54
	v_fmac_f16_e32 v69, 0x34f2, v21
	v_fmac_f16_e32 v7, 0x34f2, v21
	;; [unrolled: 1-line block ×3, first 2 shown]
	v_add_f16_e32 v21, v58, v63
	v_fmac_f16_e32 v64, 0xb8b4, v57
	v_add_f16_e32 v22, v18, v22
	v_add_f16_e32 v42, v5, v52
	v_fma_f16 v18, -0.5, v32, v5
	v_sub_f16_e32 v32, v51, v55
	v_fmac_f16_e32 v60, 0x34f2, v21
	v_fmac_f16_e32 v64, 0x34f2, v21
	v_add_f16_e32 v21, v42, v53
	v_sub_f16_e32 v49, v49, v50
	v_fmamk_f16 v42, v32, 0x3b9c, v18
	v_sub_f16_e32 v50, v52, v53
	v_sub_f16_e32 v51, v56, v54
	v_fmac_f16_e32 v18, 0xbb9c, v32
	v_add_f16_e32 v55, v52, v56
	v_fmamk_f16 v58, v57, 0xbb9c, v6
	v_fmac_f16_e32 v6, 0x3b9c, v57
	v_fmac_f16_e32 v42, 0x38b4, v49
	v_add_f16_e32 v50, v50, v51
	v_fmac_f16_e32 v18, 0xb8b4, v49
	v_fmac_f16_e32 v5, -0.5, v55
	v_fmac_f16_e32 v58, 0x38b4, v59
	v_fmac_f16_e32 v6, 0xb8b4, v59
	v_add_f16_e32 v21, v21, v54
	v_fmac_f16_e32 v42, 0x34f2, v50
	v_fmac_f16_e32 v18, 0x34f2, v50
	v_fmamk_f16 v50, v49, 0xbb9c, v5
	v_fmac_f16_e32 v5, 0x3b9c, v49
	v_add_f16_e32 v49, v12, v43
	v_fmac_f16_e32 v58, 0x34f2, v22
	v_fmac_f16_e32 v6, 0x34f2, v22
	v_add_f16_e32 v51, v21, v56
	v_add_f16_e32 v21, v44, v48
	v_sub_f16_e32 v22, v53, v52
	v_sub_f16_e32 v52, v54, v56
	v_fmac_f16_e32 v50, 0x38b4, v32
	v_fmac_f16_e32 v5, 0xb8b4, v32
	v_add_f16_e32 v32, v49, v44
	v_add_f16_e32 v49, v43, v41
	v_fma_f16 v21, -0.5, v21, v12
	v_sub_f16_e32 v46, v46, v47
	v_add_f16_e32 v47, v22, v52
	v_sub_f16_e32 v45, v24, v45
	v_fmac_f16_e32 v12, -0.5, v49
	v_sub_f16_e32 v49, v41, v48
	v_fmamk_f16 v22, v46, 0x3b9c, v21
	v_fmac_f16_e32 v50, 0x34f2, v47
	v_fmac_f16_e32 v5, 0x34f2, v47
	v_sub_f16_e32 v47, v43, v44
	v_fmac_f16_e32 v21, 0xbb9c, v46
	v_fmamk_f16 v24, v45, 0xbb9c, v12
	v_sub_f16_e32 v43, v44, v43
	v_sub_f16_e32 v44, v48, v41
	v_fmac_f16_e32 v12, 0x3b9c, v45
	v_add_f16_e32 v32, v32, v48
	v_fmac_f16_e32 v22, 0x38b4, v45
	v_add_f16_e32 v47, v47, v49
	v_fmac_f16_e32 v21, 0xb8b4, v45
	v_fmac_f16_e32 v24, 0x38b4, v46
	v_add_f16_e32 v43, v43, v44
	v_fmac_f16_e32 v12, 0xb8b4, v46
	v_add_f16_e32 v32, v32, v41
	v_fmac_f16_e32 v22, 0x34f2, v47
	v_fmac_f16_e32 v21, 0x34f2, v47
	;; [unrolled: 1-line block ×4, first 2 shown]
	s_waitcnt lgkmcnt(0)
	s_barrier
	buffer_gl0_inv
	ds_write_b16 v40, v65
	ds_write_b16 v40, v68 offset:72
	ds_write_b16 v40, v69 offset:144
	ds_write_b16 v40, v7 offset:216
	ds_write_b16 v40, v66 offset:288
	ds_write_b16 v39, v67
	ds_write_b16 v39, v60 offset:72
	ds_write_b16 v39, v58 offset:144
	ds_write_b16 v39, v6 offset:216
	ds_write_b16 v39, v64 offset:288
	;; [unrolled: 5-line block ×4, first 2 shown]
	s_waitcnt lgkmcnt(0)
	s_barrier
	buffer_gl0_inv
	ds_read_u16 v37, v4
	ds_read_u16 v39, v4 offset:1440
	ds_read_u16 v46, v4 offset:1206
	;; [unrolled: 1-line block ×13, first 2 shown]
	s_and_saveexec_b32 s1, s0
	s_cbranch_execz .LBB0_31
; %bb.30:
	ds_read_u16 v18, v4 offset:252
	ds_read_u16 v32, v4 offset:612
	;; [unrolled: 1-line block ×7, first 2 shown]
.LBB0_31:
	s_or_b32 exec_lo, exec_lo, s1
	s_and_saveexec_b32 s1, vcc_lo
	s_cbranch_execz .LBB0_34
; %bb.32:
	v_mul_u32_u24_e32 v1, 6, v1
	v_add_co_u32 v2, vcc_lo, s2, v2
	v_add_co_ci_u32_e32 v3, vcc_lo, s3, v3, vcc_lo
	v_lshlrev_b32_e32 v1, 2, v1
	s_clause 0x1
	global_load_dwordx4 v[51:54], v1, s[8:9] offset:712
	global_load_dwordx2 v[59:60], v1, s[8:9] offset:728
	v_mul_u32_u24_e32 v1, 6, v0
	v_lshlrev_b32_e32 v1, 2, v1
	s_clause 0x1
	global_load_dwordx4 v[55:58], v1, s[8:9] offset:712
	global_load_dwordx2 v[61:62], v1, s[8:9] offset:728
	v_mov_b32_e32 v1, 0
	v_lshlrev_b64 v[4:5], 2, v[0:1]
	v_add_co_u32 v2, vcc_lo, v2, v4
	v_add_co_ci_u32_e32 v3, vcc_lo, v3, v5, vcc_lo
	v_add_co_u32 v4, vcc_lo, 0x800, v2
	v_add_co_ci_u32_e32 v5, vcc_lo, 0, v3, vcc_lo
	;; [unrolled: 2-line block ×3, first 2 shown]
	s_waitcnt vmcnt(3) lgkmcnt(7)
	v_mul_f16_sdwa v63, v47, v51 dst_sel:DWORD dst_unused:UNUSED_PAD src0_sel:DWORD src1_sel:WORD_1
	s_waitcnt vmcnt(2) lgkmcnt(4)
	v_mul_f16_sdwa v64, v49, v60 dst_sel:DWORD dst_unused:UNUSED_PAD src0_sel:DWORD src1_sel:WORD_1
	s_waitcnt lgkmcnt(0)
	v_mul_f16_sdwa v65, v50, v54 dst_sel:DWORD dst_unused:UNUSED_PAD src0_sel:DWORD src1_sel:WORD_1
	v_mul_f16_sdwa v66, v46, v53 dst_sel:DWORD dst_unused:UNUSED_PAD src0_sel:DWORD src1_sel:WORD_1
	v_mul_f16_sdwa v67, v44, v52 dst_sel:DWORD dst_unused:UNUSED_PAD src0_sel:DWORD src1_sel:WORD_1
	v_mul_f16_sdwa v68, v48, v59 dst_sel:DWORD dst_unused:UNUSED_PAD src0_sel:DWORD src1_sel:WORD_1
	v_mul_f16_sdwa v69, v35, v60 dst_sel:DWORD dst_unused:UNUSED_PAD src0_sel:DWORD src1_sel:WORD_1
	v_mul_f16_sdwa v70, v33, v51 dst_sel:DWORD dst_unused:UNUSED_PAD src0_sel:DWORD src1_sel:WORD_1
	v_mul_f16_sdwa v71, v30, v53 dst_sel:DWORD dst_unused:UNUSED_PAD src0_sel:DWORD src1_sel:WORD_1
	v_mul_f16_sdwa v72, v36, v54 dst_sel:DWORD dst_unused:UNUSED_PAD src0_sel:DWORD src1_sel:WORD_1
	v_mul_f16_sdwa v73, v34, v59 dst_sel:DWORD dst_unused:UNUSED_PAD src0_sel:DWORD src1_sel:WORD_1
	v_mul_f16_sdwa v74, v31, v52 dst_sel:DWORD dst_unused:UNUSED_PAD src0_sel:DWORD src1_sel:WORD_1
	s_waitcnt vmcnt(1)
	v_mul_f16_sdwa v75, v42, v55 dst_sel:DWORD dst_unused:UNUSED_PAD src0_sel:DWORD src1_sel:WORD_1
	s_waitcnt vmcnt(0)
	v_mul_f16_sdwa v76, v45, v62 dst_sel:DWORD dst_unused:UNUSED_PAD src0_sel:DWORD src1_sel:WORD_1
	v_mul_f16_sdwa v77, v39, v58 dst_sel:DWORD dst_unused:UNUSED_PAD src0_sel:DWORD src1_sel:WORD_1
	v_mul_f16_sdwa v78, v41, v57 dst_sel:DWORD dst_unused:UNUSED_PAD src0_sel:DWORD src1_sel:WORD_1
	v_mul_f16_sdwa v79, v40, v56 dst_sel:DWORD dst_unused:UNUSED_PAD src0_sel:DWORD src1_sel:WORD_1
	v_mul_f16_sdwa v80, v43, v61 dst_sel:DWORD dst_unused:UNUSED_PAD src0_sel:DWORD src1_sel:WORD_1
	v_mul_f16_sdwa v81, v29, v62 dst_sel:DWORD dst_unused:UNUSED_PAD src0_sel:DWORD src1_sel:WORD_1
	v_mul_f16_sdwa v82, v27, v55 dst_sel:DWORD dst_unused:UNUSED_PAD src0_sel:DWORD src1_sel:WORD_1
	v_mul_f16_sdwa v85, v28, v61 dst_sel:DWORD dst_unused:UNUSED_PAD src0_sel:DWORD src1_sel:WORD_1
	v_mul_f16_sdwa v86, v26, v56 dst_sel:DWORD dst_unused:UNUSED_PAD src0_sel:DWORD src1_sel:WORD_1
	v_mul_f16_sdwa v83, v25, v57 dst_sel:DWORD dst_unused:UNUSED_PAD src0_sel:DWORD src1_sel:WORD_1
	v_mul_f16_sdwa v84, v23, v58 dst_sel:DWORD dst_unused:UNUSED_PAD src0_sel:DWORD src1_sel:WORD_1
	v_fmac_f16_e32 v63, v33, v51
	v_fmac_f16_e32 v64, v35, v60
	;; [unrolled: 1-line block ×6, first 2 shown]
	v_fma_f16 v30, v49, v60, -v69
	v_fma_f16 v31, v47, v51, -v70
	;; [unrolled: 1-line block ×6, first 2 shown]
	v_fmac_f16_e32 v75, v27, v55
	v_fmac_f16_e32 v76, v29, v62
	;; [unrolled: 1-line block ×6, first 2 shown]
	v_fma_f16 v23, v45, v62, -v81
	v_fma_f16 v25, v42, v55, -v82
	;; [unrolled: 1-line block ×6, first 2 shown]
	v_sub_f16_e32 v39, v63, v64
	v_sub_f16_e32 v40, v65, v66
	;; [unrolled: 1-line block ×3, first 2 shown]
	v_add_f16_e32 v42, v31, v30
	v_add_f16_e32 v43, v34, v33
	;; [unrolled: 1-line block ×6, first 2 shown]
	v_sub_f16_e32 v30, v31, v30
	v_sub_f16_e32 v31, v34, v33
	;; [unrolled: 1-line block ×3, first 2 shown]
	v_add_f16_e32 v48, v25, v23
	v_add_f16_e32 v50, v29, v28
	;; [unrolled: 1-line block ×4, first 2 shown]
	v_sub_f16_e32 v34, v75, v76
	v_sub_f16_e32 v35, v77, v78
	;; [unrolled: 1-line block ×3, first 2 shown]
	v_add_f16_e32 v49, v27, v26
	v_add_f16_e32 v52, v77, v78
	v_sub_f16_e32 v23, v25, v23
	v_sub_f16_e32 v25, v27, v26
	;; [unrolled: 1-line block ×5, first 2 shown]
	v_add_f16_e32 v29, v40, v41
	v_sub_f16_e32 v40, v42, v43
	v_sub_f16_e32 v54, v43, v44
	v_add_f16_e32 v55, v42, v44
	v_sub_f16_e32 v56, v45, v46
	v_sub_f16_e32 v57, v46, v47
	;; [unrolled: 3-line block ×4, first 2 shown]
	v_add_f16_e32 v63, v48, v50
	v_add_f16_e32 v66, v51, v53
	v_sub_f16_e32 v42, v44, v42
	v_sub_f16_e32 v44, v47, v45
	;; [unrolled: 1-line block ×4, first 2 shown]
	v_add_f16_e32 v35, v35, v36
	v_sub_f16_e32 v61, v48, v49
	v_sub_f16_e32 v62, v49, v50
	;; [unrolled: 1-line block ×6, first 2 shown]
	v_add_f16_e32 v25, v25, v26
	v_sub_f16_e32 v36, v36, v34
	v_sub_f16_e32 v48, v50, v48
	;; [unrolled: 1-line block ×4, first 2 shown]
	v_mul_f16_e32 v28, 0x3846, v28
	v_add_f16_e32 v29, v39, v29
	v_mul_f16_e32 v39, 0x3a52, v40
	v_mul_f16_e32 v51, 0x2b26, v54
	v_add_f16_e32 v43, v43, v55
	v_mul_f16_e32 v53, 0x3a52, v56
	;; [unrolled: 3-line block ×3, first 2 shown]
	v_add_f16_e32 v30, v30, v31
	v_mul_f16_e32 v31, 0xbb00, v41
	v_mul_f16_e32 v57, 0xbb00, v33
	v_add_f16_e32 v49, v49, v63
	v_add_f16_e32 v52, v52, v66
	v_mul_f16_e32 v47, 0x3846, v47
	v_add_f16_e32 v34, v34, v35
	v_mul_f16_e32 v35, 0x3a52, v61
	v_mul_f16_e32 v58, 0x2b26, v62
	;; [unrolled: 1-line block ×4, first 2 shown]
	v_add_f16_e32 v23, v23, v25
	v_mul_f16_e32 v25, 0xbb00, v36
	v_mul_f16_e32 v65, 0xbb00, v26
	v_fmamk_f16 v66, v27, 0xb574, v28
	v_add_f16_e32 v38, v38, v43
	v_add_f16_e32 v20, v20, v46
	v_fmamk_f16 v68, v59, 0xb574, v55
	v_fma_f16 v27, v27, 0x3574, -v31
	v_fma_f16 v31, v42, 0xb9e0, -v39
	;; [unrolled: 1-line block ×6, first 2 shown]
	v_add_f16_e32 v37, v37, v49
	v_add_f16_e32 v19, v19, v52
	v_mul_f16_e32 v60, 0x3a52, v64
	v_fmamk_f16 v40, v40, 0x3a52, v51
	v_fmamk_f16 v56, v56, 0x3a52, v54
	v_fma_f16 v42, v42, 0x39e0, -v51
	v_fma_f16 v41, v44, 0x39e0, -v54
	v_fmamk_f16 v44, v45, 0xb574, v47
	v_fmamk_f16 v51, v61, 0x3a52, v58
	;; [unrolled: 1-line block ×4, first 2 shown]
	v_fma_f16 v25, v45, 0x3574, -v25
	v_fma_f16 v35, v48, 0xb9e0, -v35
	;; [unrolled: 1-line block ×6, first 2 shown]
	v_fmac_f16_e32 v66, 0xb70e, v29
	v_fmamk_f16 v43, v43, 0xbcab, v38
	v_fmamk_f16 v46, v46, 0xbcab, v20
	v_fmac_f16_e32 v68, 0xb70e, v30
	v_fmac_f16_e32 v27, 0xb70e, v29
	;; [unrolled: 1-line block ×5, first 2 shown]
	v_fmamk_f16 v29, v49, 0xbcab, v37
	v_fmamk_f16 v30, v52, 0xbcab, v19
	v_fma_f16 v45, v50, 0xb9e0, -v60
	v_fma_f16 v47, v50, 0x39e0, -v62
	v_fmac_f16_e32 v44, 0xb70e, v34
	v_fmac_f16_e32 v55, 0xb70e, v23
	;; [unrolled: 1-line block ×6, first 2 shown]
	v_pack_b32_f16 v19, v19, v37
	v_add_f16_e32 v23, v40, v43
	v_add_f16_e32 v37, v39, v46
	;; [unrolled: 1-line block ×7, first 2 shown]
	v_pack_b32_f16 v20, v20, v38
	v_add_f16_e32 v31, v31, v43
	v_add_f16_e32 v38, v42, v43
	;; [unrolled: 1-line block ×6, first 2 shown]
	v_sub_f16_e32 v33, v39, v33
	v_add_f16_e32 v39, v25, v35
	v_sub_f16_e32 v48, v29, v36
	v_add_f16_e32 v29, v36, v29
	v_sub_f16_e32 v25, v35, v25
	v_sub_f16_e32 v35, v40, v44
	v_add_f16_e32 v36, v55, v41
	v_add_f16_e32 v43, v27, v31
	v_sub_f16_e32 v45, v37, v53
	v_sub_f16_e32 v27, v31, v27
	v_add_f16_e32 v31, v53, v37
	v_add_f16_e32 v37, v44, v40
	;; [unrolled: 1-line block ×3, first 2 shown]
	v_sub_f16_e32 v46, v38, v28
	v_add_f16_e32 v28, v28, v38
	v_sub_f16_e32 v38, v41, v55
	v_sub_f16_e32 v41, v30, v26
	v_add_f16_e32 v26, v26, v30
	v_sub_f16_e32 v30, v42, v57
	global_store_dword v[2:3], v19, off
	global_store_dword v[2:3], v20, off offset:252
	v_add_f16_e32 v19, v66, v23
	v_sub_f16_e32 v20, v34, v68
	v_sub_f16_e32 v23, v23, v66
	v_add_f16_e32 v34, v68, v34
	v_pack_b32_f16 v35, v36, v35
	v_pack_b32_f16 v25, v40, v25
	;; [unrolled: 1-line block ×12, first 2 shown]
	global_store_dword v[2:3], v35, off offset:720
	global_store_dword v[2:3], v25, off offset:1440
	;; [unrolled: 1-line block ×12, first 2 shown]
	s_and_b32 exec_lo, exec_lo, s0
	s_cbranch_execz .LBB0_34
; %bb.33:
	v_subrev_nc_u32_e32 v0, 54, v0
	v_cndmask_b32_e64 v0, v0, v8, s0
	v_mul_i32_i24_e32 v0, 6, v0
	v_lshlrev_b64 v[0:1], 2, v[0:1]
	v_add_co_u32 v0, vcc_lo, s8, v0
	v_add_co_ci_u32_e32 v1, vcc_lo, s9, v1, vcc_lo
	s_clause 0x1
	global_load_dwordx4 v[25:28], v[0:1], off offset:712
	global_load_dwordx2 v[0:1], v[0:1], off offset:728
	s_waitcnt vmcnt(1)
	v_mul_f16_sdwa v8, v32, v25 dst_sel:DWORD dst_unused:UNUSED_PAD src0_sel:DWORD src1_sel:WORD_1
	v_mul_f16_sdwa v19, v17, v25 dst_sel:DWORD dst_unused:UNUSED_PAD src0_sel:DWORD src1_sel:WORD_1
	;; [unrolled: 1-line block ×4, first 2 shown]
	s_waitcnt vmcnt(0)
	v_mul_f16_sdwa v34, v21, v0 dst_sel:DWORD dst_unused:UNUSED_PAD src0_sel:DWORD src1_sel:WORD_1
	v_mul_f16_sdwa v35, v14, v0 dst_sel:DWORD dst_unused:UNUSED_PAD src0_sel:DWORD src1_sel:WORD_1
	;; [unrolled: 1-line block ×8, first 2 shown]
	v_fmac_f16_e32 v8, v17, v25
	v_fma_f16 v17, v32, v25, -v19
	v_fmac_f16_e32 v20, v15, v26
	v_fma_f16 v15, v22, v26, -v23
	;; [unrolled: 2-line block ×6, first 2 shown]
	v_add_f16_e32 v10, v8, v36
	v_add_f16_e32 v11, v17, v1
	;; [unrolled: 1-line block ×4, first 2 shown]
	v_sub_f16_e32 v8, v8, v36
	v_sub_f16_e32 v1, v17, v1
	;; [unrolled: 1-line block ×4, first 2 shown]
	v_add_f16_e32 v15, v29, v31
	v_add_f16_e32 v19, v16, v9
	v_sub_f16_e32 v20, v31, v29
	v_sub_f16_e32 v9, v9, v16
	v_add_f16_e32 v16, v12, v10
	v_add_f16_e32 v21, v14, v11
	v_sub_f16_e32 v22, v12, v10
	v_sub_f16_e32 v23, v14, v11
	;; [unrolled: 1-line block ×6, first 2 shown]
	v_add_f16_e32 v24, v20, v17
	v_add_f16_e32 v25, v9, v0
	v_sub_f16_e32 v26, v20, v17
	v_sub_f16_e32 v27, v9, v0
	;; [unrolled: 1-line block ×4, first 2 shown]
	v_add_f16_e32 v15, v15, v16
	v_add_f16_e32 v16, v19, v21
	v_sub_f16_e32 v20, v8, v20
	v_sub_f16_e32 v9, v1, v9
	v_add_f16_e32 v8, v24, v8
	v_add_f16_e32 v1, v25, v1
	v_mul_f16_e32 v10, 0x3a52, v10
	v_mul_f16_e32 v11, 0x3a52, v11
	;; [unrolled: 1-line block ×8, first 2 shown]
	v_add_f16_e32 v13, v13, v15
	v_add_f16_e32 v18, v18, v16
	v_fmamk_f16 v12, v12, 0x2b26, v10
	v_fmamk_f16 v14, v14, 0x2b26, v11
	v_fma_f16 v19, v22, 0x39e0, -v19
	v_fma_f16 v21, v23, 0x39e0, -v21
	;; [unrolled: 1-line block ×4, first 2 shown]
	v_fmamk_f16 v22, v20, 0xb574, v24
	v_fmamk_f16 v23, v9, 0xb574, v25
	v_fma_f16 v17, v17, 0xbb00, -v24
	v_fma_f16 v0, v0, 0xbb00, -v25
	;; [unrolled: 1-line block ×4, first 2 shown]
	v_fmamk_f16 v15, v15, 0xbcab, v13
	v_fmamk_f16 v16, v16, 0xbcab, v18
	v_fmac_f16_e32 v22, 0xb70e, v8
	v_fmac_f16_e32 v23, 0xb70e, v1
	;; [unrolled: 1-line block ×6, first 2 shown]
	v_pack_b32_f16 v1, v13, v18
	v_add_f16_e32 v8, v12, v15
	v_add_f16_e32 v12, v14, v16
	;; [unrolled: 1-line block ×6, first 2 shown]
	global_store_dword v[2:3], v1, off offset:504
	v_add_f16_e32 v1, v23, v8
	v_sub_f16_e32 v15, v12, v22
	v_add_f16_e32 v16, v9, v10
	v_sub_f16_e32 v18, v11, v20
	v_sub_f16_e32 v19, v13, v0
	v_add_f16_e32 v21, v17, v14
	v_add_f16_e32 v0, v0, v13
	v_sub_f16_e32 v13, v14, v17
	v_sub_f16_e32 v9, v10, v9
	v_add_f16_e32 v10, v20, v11
	v_sub_f16_e32 v8, v8, v23
	v_add_f16_e32 v11, v22, v12
	v_pack_b32_f16 v1, v1, v15
	v_pack_b32_f16 v12, v16, v18
	;; [unrolled: 1-line block ×6, first 2 shown]
	global_store_dword v[2:3], v1, off offset:1224
	global_store_dword v[2:3], v12, off offset:1944
	;; [unrolled: 1-line block ×6, first 2 shown]
.LBB0_34:
	s_endpgm
	.section	.rodata,"a",@progbits
	.p2align	6, 0x0
	.amdhsa_kernel fft_rtc_back_len1260_factors_2_2_3_3_5_7_wgs_63_tpt_63_halfLds_half_ip_CI_unitstride_sbrr_dirReg
		.amdhsa_group_segment_fixed_size 0
		.amdhsa_private_segment_fixed_size 0
		.amdhsa_kernarg_size 88
		.amdhsa_user_sgpr_count 6
		.amdhsa_user_sgpr_private_segment_buffer 1
		.amdhsa_user_sgpr_dispatch_ptr 0
		.amdhsa_user_sgpr_queue_ptr 0
		.amdhsa_user_sgpr_kernarg_segment_ptr 1
		.amdhsa_user_sgpr_dispatch_id 0
		.amdhsa_user_sgpr_flat_scratch_init 0
		.amdhsa_user_sgpr_private_segment_size 0
		.amdhsa_wavefront_size32 1
		.amdhsa_uses_dynamic_stack 0
		.amdhsa_system_sgpr_private_segment_wavefront_offset 0
		.amdhsa_system_sgpr_workgroup_id_x 1
		.amdhsa_system_sgpr_workgroup_id_y 0
		.amdhsa_system_sgpr_workgroup_id_z 0
		.amdhsa_system_sgpr_workgroup_info 0
		.amdhsa_system_vgpr_workitem_id 0
		.amdhsa_next_free_vgpr 103
		.amdhsa_next_free_sgpr 21
		.amdhsa_reserve_vcc 1
		.amdhsa_reserve_flat_scratch 0
		.amdhsa_float_round_mode_32 0
		.amdhsa_float_round_mode_16_64 0
		.amdhsa_float_denorm_mode_32 3
		.amdhsa_float_denorm_mode_16_64 3
		.amdhsa_dx10_clamp 1
		.amdhsa_ieee_mode 1
		.amdhsa_fp16_overflow 0
		.amdhsa_workgroup_processor_mode 1
		.amdhsa_memory_ordered 1
		.amdhsa_forward_progress 0
		.amdhsa_shared_vgpr_count 0
		.amdhsa_exception_fp_ieee_invalid_op 0
		.amdhsa_exception_fp_denorm_src 0
		.amdhsa_exception_fp_ieee_div_zero 0
		.amdhsa_exception_fp_ieee_overflow 0
		.amdhsa_exception_fp_ieee_underflow 0
		.amdhsa_exception_fp_ieee_inexact 0
		.amdhsa_exception_int_div_zero 0
	.end_amdhsa_kernel
	.text
.Lfunc_end0:
	.size	fft_rtc_back_len1260_factors_2_2_3_3_5_7_wgs_63_tpt_63_halfLds_half_ip_CI_unitstride_sbrr_dirReg, .Lfunc_end0-fft_rtc_back_len1260_factors_2_2_3_3_5_7_wgs_63_tpt_63_halfLds_half_ip_CI_unitstride_sbrr_dirReg
                                        ; -- End function
	.section	.AMDGPU.csdata,"",@progbits
; Kernel info:
; codeLenInByte = 13792
; NumSgprs: 23
; NumVgprs: 103
; ScratchSize: 0
; MemoryBound: 0
; FloatMode: 240
; IeeeMode: 1
; LDSByteSize: 0 bytes/workgroup (compile time only)
; SGPRBlocks: 2
; VGPRBlocks: 12
; NumSGPRsForWavesPerEU: 23
; NumVGPRsForWavesPerEU: 103
; Occupancy: 9
; WaveLimiterHint : 1
; COMPUTE_PGM_RSRC2:SCRATCH_EN: 0
; COMPUTE_PGM_RSRC2:USER_SGPR: 6
; COMPUTE_PGM_RSRC2:TRAP_HANDLER: 0
; COMPUTE_PGM_RSRC2:TGID_X_EN: 1
; COMPUTE_PGM_RSRC2:TGID_Y_EN: 0
; COMPUTE_PGM_RSRC2:TGID_Z_EN: 0
; COMPUTE_PGM_RSRC2:TIDIG_COMP_CNT: 0
	.text
	.p2alignl 6, 3214868480
	.fill 48, 4, 3214868480
	.type	__hip_cuid_cfe7e0b92d53706d,@object ; @__hip_cuid_cfe7e0b92d53706d
	.section	.bss,"aw",@nobits
	.globl	__hip_cuid_cfe7e0b92d53706d
__hip_cuid_cfe7e0b92d53706d:
	.byte	0                               ; 0x0
	.size	__hip_cuid_cfe7e0b92d53706d, 1

	.ident	"AMD clang version 19.0.0git (https://github.com/RadeonOpenCompute/llvm-project roc-6.4.0 25133 c7fe45cf4b819c5991fe208aaa96edf142730f1d)"
	.section	".note.GNU-stack","",@progbits
	.addrsig
	.addrsig_sym __hip_cuid_cfe7e0b92d53706d
	.amdgpu_metadata
---
amdhsa.kernels:
  - .args:
      - .actual_access:  read_only
        .address_space:  global
        .offset:         0
        .size:           8
        .value_kind:     global_buffer
      - .offset:         8
        .size:           8
        .value_kind:     by_value
      - .actual_access:  read_only
        .address_space:  global
        .offset:         16
        .size:           8
        .value_kind:     global_buffer
      - .actual_access:  read_only
        .address_space:  global
        .offset:         24
        .size:           8
        .value_kind:     global_buffer
      - .offset:         32
        .size:           8
        .value_kind:     by_value
      - .actual_access:  read_only
        .address_space:  global
        .offset:         40
        .size:           8
        .value_kind:     global_buffer
      - .actual_access:  read_only
        .address_space:  global
        .offset:         48
        .size:           8
        .value_kind:     global_buffer
      - .offset:         56
        .size:           4
        .value_kind:     by_value
      - .actual_access:  read_only
        .address_space:  global
        .offset:         64
        .size:           8
        .value_kind:     global_buffer
      - .actual_access:  read_only
        .address_space:  global
        .offset:         72
        .size:           8
        .value_kind:     global_buffer
      - .address_space:  global
        .offset:         80
        .size:           8
        .value_kind:     global_buffer
    .group_segment_fixed_size: 0
    .kernarg_segment_align: 8
    .kernarg_segment_size: 88
    .language:       OpenCL C
    .language_version:
      - 2
      - 0
    .max_flat_workgroup_size: 63
    .name:           fft_rtc_back_len1260_factors_2_2_3_3_5_7_wgs_63_tpt_63_halfLds_half_ip_CI_unitstride_sbrr_dirReg
    .private_segment_fixed_size: 0
    .sgpr_count:     23
    .sgpr_spill_count: 0
    .symbol:         fft_rtc_back_len1260_factors_2_2_3_3_5_7_wgs_63_tpt_63_halfLds_half_ip_CI_unitstride_sbrr_dirReg.kd
    .uniform_work_group_size: 1
    .uses_dynamic_stack: false
    .vgpr_count:     103
    .vgpr_spill_count: 0
    .wavefront_size: 32
    .workgroup_processor_mode: 1
amdhsa.target:   amdgcn-amd-amdhsa--gfx1030
amdhsa.version:
  - 1
  - 2
...

	.end_amdgpu_metadata
